;; amdgpu-corpus repo=ROCm/hip-tests kind=compiled arch=gfx1250 opt=O3
	.amdgcn_target "amdgcn-amd-amdhsa--gfx1250"
	.amdhsa_code_object_version 6
	.text
	.protected	_Z16kernel_shfl_downPiS_ii ; -- Begin function _Z16kernel_shfl_downPiS_ii
	.globl	_Z16kernel_shfl_downPiS_ii
	.p2align	8
	.type	_Z16kernel_shfl_downPiS_ii,@function
_Z16kernel_shfl_downPiS_ii:             ; @_Z16kernel_shfl_downPiS_ii
; %bb.0:
	s_clause 0x1
	s_load_b32 s2, s[0:1], 0x24
	s_load_b64 s[4:5], s[0:1], 0x10
	s_bfe_u32 s3, ttmp6, 0x4000c
	s_and_b32 s6, ttmp6, 15
	s_add_co_i32 s3, s3, 1
	s_getreg_b32 s7, hwreg(HW_REG_IB_STS2, 6, 4)
	s_mul_i32 s3, ttmp9, s3
	s_delay_alu instid0(SALU_CYCLE_1)
	s_add_co_i32 s6, s6, s3
	s_wait_kmcnt 0x0
	s_and_b32 s2, s2, 0xffff
	s_cmp_eq_u32 s7, 0
	s_cselect_b32 s3, ttmp9, s6
	s_abs_i32 s5, s5
	v_mad_u32 v0, s3, s2, v0
	s_cvt_f32_u32 s6, s5
	s_sub_co_i32 s3, 0, s5
	s_delay_alu instid0(SALU_CYCLE_2) | instskip(SKIP_1) | instid1(TRANS32_DEP_1)
	v_rcp_iflag_f32_e32 v1, s6
	v_nop
	v_readfirstlane_b32 s2, v1
	s_delay_alu instid0(VALU_DEP_3) | instskip(SKIP_1) | instid1(VALU_DEP_1)
	v_sub_nc_u32_e32 v1, 0, v0
	s_mul_f32 s2, s2, 0x4f7ffffe
	v_dual_ashrrev_i32 v0, 31, v0 :: v_dual_max_i32 v1, v0, v1
	s_delay_alu instid0(SALU_CYCLE_2) | instskip(NEXT) | instid1(SALU_CYCLE_3)
	s_cvt_u32_f32 s2, s2
	s_mul_i32 s3, s3, s2
	s_delay_alu instid0(SALU_CYCLE_1) | instskip(NEXT) | instid1(SALU_CYCLE_1)
	s_mul_hi_u32 s3, s2, s3
	s_add_co_i32 s2, s2, s3
	s_delay_alu instid0(SALU_CYCLE_1) | instskip(SKIP_1) | instid1(VALU_DEP_1)
	v_mul_hi_u32 v2, v1, s2
	s_mov_b32 s2, exec_lo
	v_mul_lo_u32 v2, v2, s5
	s_delay_alu instid0(VALU_DEP_1) | instskip(NEXT) | instid1(VALU_DEP_1)
	v_sub_nc_u32_e32 v1, v1, v2
	v_subrev_nc_u32_e32 v2, s5, v1
	v_cmp_le_u32_e32 vcc_lo, s5, v1
	s_delay_alu instid0(VALU_DEP_2) | instskip(NEXT) | instid1(VALU_DEP_1)
	v_cndmask_b32_e32 v1, v1, v2, vcc_lo
	v_subrev_nc_u32_e32 v2, s5, v1
	v_cmp_le_u32_e32 vcc_lo, s5, v1
	s_delay_alu instid0(VALU_DEP_2) | instskip(NEXT) | instid1(VALU_DEP_1)
	v_cndmask_b32_e32 v1, v1, v2, vcc_lo
	v_xor_b32_e32 v1, v1, v0
	s_delay_alu instid0(VALU_DEP_1) | instskip(NEXT) | instid1(VALU_DEP_1)
	v_sub_nc_u32_e32 v0, v1, v0
	v_cmpx_eq_u32_e32 0, v0
	s_cbranch_execz .LBB0_14
; %bb.1:
	s_load_b128 s[0:3], s[0:1], 0x0
	v_mbcnt_lo_u32_b32 v0, exec_lo, 0
	v_mbcnt_lo_u32_b32 v2, -1, 0
	s_cmp_lg_u32 exec_lo, -1
	s_wait_kmcnt 0x0
	global_load_b32 v1, v0, s[0:1] scale_offset
	s_wait_xcnt 0x0
	s_mov_b32 s0, -1
	s_cbranch_scc0 .LBB0_6
; %bb.2:
	v_add_co_u32 v3, s0, s4, 1
	s_and_not1_b32 vcc_lo, exec_lo, s0
	s_cbranch_vccz .LBB0_7
; %bb.3:
	v_cmp_lt_i32_e32 vcc_lo, -1, v3
	v_dual_mov_b32 v5, v2 :: v_dual_mov_b32 v4, v3
	s_mov_b32 s0, exec_lo
	s_cbranch_vccnz .LBB0_5
; %bb.4:
	s_not_b32 s0, s4
	s_delay_alu instid0(SALU_CYCLE_1)
	v_dual_mov_b32 v4, s0 :: v_dual_bitop2_b32 v5, 31, v2 bitop3:0x14
	s_brev_b32 s0, exec_lo
.LBB0_5:
	s_delay_alu instid0(SALU_CYCLE_1)
	v_mov_b32_e32 v6, s0
	s_cbranch_execz .LBB0_8
	s_branch .LBB0_9
.LBB0_6:
                                        ; implicit-def: $vgpr3
	s_and_b32 vcc_lo, exec_lo, s0
	s_cbranch_vccnz .LBB0_12
	s_branch .LBB0_13
.LBB0_7:
                                        ; implicit-def: $vgpr5
                                        ; implicit-def: $vgpr4
                                        ; implicit-def: $vgpr6
.LBB0_8:
	v_lshlrev_b32_e64 v5, v2, 1
	s_delay_alu instid0(VALU_DEP_1)
	v_dual_mov_b32 v4, 1 :: v_dual_bitop2_b32 v6, exec_lo, v5 bitop3:0x40
	v_mov_b32_e32 v5, v2
.LBB0_9:
	s_delay_alu instid0(VALU_DEP_1) | instskip(SKIP_1) | instid1(VALU_DEP_1)
	v_lshlrev_b32_e64 v5, v5, -1
	s_mov_b32 s5, exec_lo
	v_dual_mov_b32 v6, -1 :: v_dual_bitop2_b32 v5, v5, v6 bitop3:0x40
	s_delay_alu instid0(VALU_DEP_1) | instskip(NEXT) | instid1(VALU_DEP_1)
	v_bcnt_u32_b32 v7, v5, 0
	v_cmpx_ge_u32_e64 v7, v4
	s_cbranch_execz .LBB0_11
; %bb.10:
	v_and_b32_e32 v6, 0xffff, v5
	s_delay_alu instid0(VALU_DEP_1) | instskip(NEXT) | instid1(VALU_DEP_1)
	v_bcnt_u32_b32 v7, v6, 0
	v_cmp_lt_u32_e32 vcc_lo, v7, v4
	v_lshrrev_b32_e32 v5, 16, v5
	s_delay_alu instid0(VALU_DEP_1) | instskip(NEXT) | instid1(VALU_DEP_1)
	v_dual_cndmask_b32 v5, v6, v5 :: v_dual_cndmask_b32 v6, 0, v7
	v_sub_nc_u32_e32 v4, v4, v6
	s_delay_alu instid0(VALU_DEP_2) | instskip(NEXT) | instid1(VALU_DEP_1)
	v_and_b32_e32 v7, 0xff, v5
	v_bcnt_u32_b32 v6, v7, 0
	s_delay_alu instid0(VALU_DEP_1) | instskip(NEXT) | instid1(VALU_DEP_1)
	v_cmp_lt_i32_e64 s0, v6, v4
	v_dual_lshrrev_b32 v5, 8, v5 :: v_dual_cndmask_b32 v6, 0, v6, s0
	s_delay_alu instid0(VALU_DEP_1) | instskip(SKIP_1) | instid1(VALU_DEP_2)
	v_cndmask_b32_e64 v5, v7, v5, s0
	v_cndmask_b32_e64 v9, 0, 8, s0
	v_dual_sub_nc_u32 v4, v4, v6 :: v_dual_bitop2_b32 v7, 15, v5 bitop3:0x40
	v_lshrrev_b32_e32 v5, 4, v5
	s_delay_alu instid0(VALU_DEP_2) | instskip(NEXT) | instid1(VALU_DEP_1)
	v_bcnt_u32_b32 v6, v7, 0
	v_cmp_lt_i32_e64 s1, v6, v4
	s_delay_alu instid0(VALU_DEP_1) | instskip(NEXT) | instid1(VALU_DEP_1)
	v_dual_cndmask_b32 v5, v7, v5, s1 :: v_dual_cndmask_b32 v6, 0, v6, s1
	v_dual_sub_nc_u32 v4, v4, v6 :: v_dual_bitop2_b32 v7, 3, v5 bitop3:0x40
	s_delay_alu instid0(VALU_DEP_1) | instskip(SKIP_1) | instid1(VALU_DEP_2)
	v_bcnt_u32_b32 v6, v7, 0
	v_cndmask_b32_e64 v7, 0, 16, vcc_lo
	v_cmp_lt_i32_e32 vcc_lo, v6, v4
	s_delay_alu instid0(VALU_DEP_2) | instskip(NEXT) | instid1(VALU_DEP_1)
	v_dual_lshrrev_b32 v8, 2, v5 :: v_dual_bitop2_b32 v7, v9, v7 bitop3:0x54
	v_dual_cndmask_b32 v6, 0, v6 :: v_dual_cndmask_b32 v5, v5, v8
	v_cndmask_b32_e64 v8, 0, 4, s1
	v_cndmask_b32_e64 v9, 0, 2, vcc_lo
	s_delay_alu instid0(VALU_DEP_3) | instskip(NEXT) | instid1(VALU_DEP_2)
	v_dual_sub_nc_u32 v4, v4, v6 :: v_dual_bitop2_b32 v5, 1, v5 bitop3:0x40
	v_or3_b32 v6, v7, v8, v9
	s_delay_alu instid0(VALU_DEP_2) | instskip(SKIP_2) | instid1(VALU_DEP_2)
	v_cmp_lt_i32_e32 vcc_lo, v5, v4
	v_cndmask_b32_e64 v4, 0, 1, vcc_lo
	v_cmp_gt_i32_e32 vcc_lo, 0, v3
	v_or_b32_e32 v5, v6, v4
	v_bitop3_b32 v4, v6, 31, v4 bitop3:0x36
	s_delay_alu instid0(VALU_DEP_1)
	v_cndmask_b32_e32 v6, v5, v4, vcc_lo
.LBB0_11:
	s_or_b32 exec_lo, exec_lo, s5
	s_delay_alu instid0(VALU_DEP_1) | instskip(SKIP_1) | instid1(VALU_DEP_1)
	v_cmp_eq_u32_e32 vcc_lo, -1, v6
	v_cndmask_b32_e32 v3, v6, v2, vcc_lo
	v_and_b32_e32 v3, 31, v3
	s_delay_alu instid0(VALU_DEP_1)
	v_lshlrev_b32_e32 v3, 2, v3
	s_wait_loadcnt 0x0
	ds_bpermute_b32 v3, v3, v1
	s_branch .LBB0_13
.LBB0_12:
	s_wait_dscnt 0x0
	v_add_nc_u32_e32 v3, s4, v2
	s_delay_alu instid0(VALU_DEP_1) | instskip(SKIP_1) | instid1(VALU_DEP_1)
	v_cmp_gt_i32_e32 vcc_lo, 32, v3
	v_cndmask_b32_e64 v3, 0, s4, vcc_lo
	v_add_lshl_u32 v2, v3, v2, 2
	s_wait_loadcnt 0x0
	ds_bpermute_b32 v3, v2, v1
.LBB0_13:
	s_wait_dscnt 0x0
	global_store_b32 v0, v3, s[2:3] scale_offset
.LBB0_14:
	s_endpgm
	.section	.rodata,"a",@progbits
	.p2align	6, 0x0
	.amdhsa_kernel _Z16kernel_shfl_downPiS_ii
		.amdhsa_group_segment_fixed_size 0
		.amdhsa_private_segment_fixed_size 0
		.amdhsa_kernarg_size 280
		.amdhsa_user_sgpr_count 2
		.amdhsa_user_sgpr_dispatch_ptr 0
		.amdhsa_user_sgpr_queue_ptr 0
		.amdhsa_user_sgpr_kernarg_segment_ptr 1
		.amdhsa_user_sgpr_dispatch_id 0
		.amdhsa_user_sgpr_kernarg_preload_length 0
		.amdhsa_user_sgpr_kernarg_preload_offset 0
		.amdhsa_user_sgpr_private_segment_size 0
		.amdhsa_wavefront_size32 1
		.amdhsa_uses_dynamic_stack 0
		.amdhsa_enable_private_segment 0
		.amdhsa_system_sgpr_workgroup_id_x 1
		.amdhsa_system_sgpr_workgroup_id_y 0
		.amdhsa_system_sgpr_workgroup_id_z 0
		.amdhsa_system_sgpr_workgroup_info 0
		.amdhsa_system_vgpr_workitem_id 0
		.amdhsa_next_free_vgpr 10
		.amdhsa_next_free_sgpr 8
		.amdhsa_named_barrier_count 0
		.amdhsa_reserve_vcc 1
		.amdhsa_float_round_mode_32 0
		.amdhsa_float_round_mode_16_64 0
		.amdhsa_float_denorm_mode_32 3
		.amdhsa_float_denorm_mode_16_64 3
		.amdhsa_fp16_overflow 0
		.amdhsa_memory_ordered 1
		.amdhsa_forward_progress 1
		.amdhsa_inst_pref_size 7
		.amdhsa_round_robin_scheduling 0
		.amdhsa_exception_fp_ieee_invalid_op 0
		.amdhsa_exception_fp_denorm_src 0
		.amdhsa_exception_fp_ieee_div_zero 0
		.amdhsa_exception_fp_ieee_overflow 0
		.amdhsa_exception_fp_ieee_underflow 0
		.amdhsa_exception_fp_ieee_inexact 0
		.amdhsa_exception_int_div_zero 0
	.end_amdhsa_kernel
	.text
.Lfunc_end0:
	.size	_Z16kernel_shfl_downPiS_ii, .Lfunc_end0-_Z16kernel_shfl_downPiS_ii
                                        ; -- End function
	.set _Z16kernel_shfl_downPiS_ii.num_vgpr, 10
	.set _Z16kernel_shfl_downPiS_ii.num_agpr, 0
	.set _Z16kernel_shfl_downPiS_ii.numbered_sgpr, 8
	.set _Z16kernel_shfl_downPiS_ii.num_named_barrier, 0
	.set _Z16kernel_shfl_downPiS_ii.private_seg_size, 0
	.set _Z16kernel_shfl_downPiS_ii.uses_vcc, 1
	.set _Z16kernel_shfl_downPiS_ii.uses_flat_scratch, 0
	.set _Z16kernel_shfl_downPiS_ii.has_dyn_sized_stack, 0
	.set _Z16kernel_shfl_downPiS_ii.has_recursion, 0
	.set _Z16kernel_shfl_downPiS_ii.has_indirect_call, 0
	.section	.AMDGPU.csdata,"",@progbits
; Kernel info:
; codeLenInByte = 876
; TotalNumSgprs: 10
; NumVgprs: 10
; ScratchSize: 0
; MemoryBound: 0
; FloatMode: 240
; IeeeMode: 1
; LDSByteSize: 0 bytes/workgroup (compile time only)
; SGPRBlocks: 0
; VGPRBlocks: 0
; NumSGPRsForWavesPerEU: 10
; NumVGPRsForWavesPerEU: 10
; NamedBarCnt: 0
; Occupancy: 16
; WaveLimiterHint : 0
; COMPUTE_PGM_RSRC2:SCRATCH_EN: 0
; COMPUTE_PGM_RSRC2:USER_SGPR: 2
; COMPUTE_PGM_RSRC2:TRAP_HANDLER: 0
; COMPUTE_PGM_RSRC2:TGID_X_EN: 1
; COMPUTE_PGM_RSRC2:TGID_Y_EN: 0
; COMPUTE_PGM_RSRC2:TGID_Z_EN: 0
; COMPUTE_PGM_RSRC2:TIDIG_COMP_CNT: 0
	.text
	.protected	_Z35kernel_cg_group_partition_shfl_downPiji ; -- Begin function _Z35kernel_cg_group_partition_shfl_downPiji
	.globl	_Z35kernel_cg_group_partition_shfl_downPiji
	.p2align	8
	.type	_Z35kernel_cg_group_partition_shfl_downPiji,@function
_Z35kernel_cg_group_partition_shfl_downPiji: ; @_Z35kernel_cg_group_partition_shfl_downPiji
; %bb.0:
	s_clause 0x1
	s_load_b32 s2, s[0:1], 0x1c
	s_load_b64 s[6:7], s[0:1], 0x8
	s_bfe_u32 s3, ttmp6, 0x4000c
	s_and_b32 s4, ttmp6, 15
	s_add_co_i32 s3, s3, 1
	s_getreg_b32 s5, hwreg(HW_REG_IB_STS2, 6, 4)
	s_mul_i32 s3, ttmp9, s3
	s_delay_alu instid0(SALU_CYCLE_1)
	s_add_co_i32 s4, s4, s3
	s_wait_kmcnt 0x0
	s_and_b32 s2, s2, 0xffff
	s_cmp_eq_u32 s5, 0
	s_cselect_b32 s3, ttmp9, s4
	s_abs_i32 s4, s7
	v_mad_u32 v0, s3, s2, v0
	s_cvt_f32_u32 s5, s4
	s_sub_co_i32 s3, 0, s4
	s_delay_alu instid0(SALU_CYCLE_2) | instskip(SKIP_2) | instid1(TRANS32_DEP_1)
	v_rcp_iflag_f32_e32 v1, s5
	s_mov_b32 s5, 0
	v_nop
	v_readfirstlane_b32 s2, v1
	s_delay_alu instid0(VALU_DEP_3) | instskip(SKIP_1) | instid1(VALU_DEP_1)
	v_sub_nc_u32_e32 v1, 0, v0
	s_mul_f32 s2, s2, 0x4f7ffffe
	v_dual_ashrrev_i32 v0, 31, v0 :: v_dual_max_i32 v1, v0, v1
	s_delay_alu instid0(SALU_CYCLE_2) | instskip(NEXT) | instid1(SALU_CYCLE_3)
	s_cvt_u32_f32 s2, s2
	s_mul_i32 s3, s3, s2
	s_delay_alu instid0(SALU_CYCLE_1) | instskip(NEXT) | instid1(SALU_CYCLE_1)
	s_mul_hi_u32 s3, s2, s3
	s_add_co_i32 s2, s2, s3
	s_delay_alu instid0(SALU_CYCLE_1) | instskip(SKIP_1) | instid1(VALU_DEP_1)
	v_mul_hi_u32 v2, v1, s2
	s_mov_b32 s2, exec_lo
	v_mul_lo_u32 v2, v2, s4
	s_delay_alu instid0(VALU_DEP_1) | instskip(NEXT) | instid1(VALU_DEP_1)
	v_sub_nc_u32_e32 v1, v1, v2
	v_subrev_nc_u32_e32 v2, s4, v1
	v_cmp_le_u32_e32 vcc_lo, s4, v1
	s_delay_alu instid0(VALU_DEP_2) | instskip(NEXT) | instid1(VALU_DEP_1)
	v_cndmask_b32_e32 v1, v1, v2, vcc_lo
	v_subrev_nc_u32_e32 v2, s4, v1
	v_cmp_le_u32_e32 vcc_lo, s4, v1
	s_delay_alu instid0(VALU_DEP_2) | instskip(NEXT) | instid1(VALU_DEP_1)
	v_cndmask_b32_e32 v1, v1, v2, vcc_lo
	v_xor_b32_e32 v1, v1, v0
	s_delay_alu instid0(VALU_DEP_1) | instskip(NEXT) | instid1(VALU_DEP_1)
	v_sub_nc_u32_e32 v0, v1, v0
	v_cmpx_eq_u32_e32 0, v0
	s_cbranch_execz .LBB1_472
; %bb.1:
	v_mbcnt_lo_u32_b32 v29, exec_lo, 0
	s_mov_b32 s4, exec_lo
	s_add_nc_u64 s[8:9], s[0:1], 16
	s_mov_b32 s7, exec_lo
	s_delay_alu instid0(VALU_DEP_1)
	v_cmpx_eq_u32_e32 0, v29
	s_cbranch_execz .LBB1_187
; %bb.2:
	s_cvt_f32_u32 s2, s6
	s_load_b64 s[10:11], s[8:9], 0x50
	v_mbcnt_lo_u32_b32 v34, -1, 0
	v_mov_b64_e32 v[2:3], 0
	v_rcp_iflag_f32_e32 v0, s2
	s_sub_co_i32 s13, 0, s6
	s_delay_alu instid0(VALU_DEP_2) | instskip(NEXT) | instid1(TRANS32_DEP_1)
	v_readfirstlane_b32 s12, v34
	v_readfirstlane_b32 s2, v0
	s_mul_f32 s2, s2, 0x4f7ffffe
	s_delay_alu instid0(SALU_CYCLE_3) | instskip(SKIP_1) | instid1(SALU_CYCLE_2)
	s_cvt_u32_f32 s3, s2
	v_cmp_eq_u32_e64 s2, s12, v34
	s_mul_i32 s12, s13, s3
	s_mov_b32 s13, 0
	s_mul_hi_u32 s14, s3, s12
	s_and_saveexec_b32 s12, s2
	s_cbranch_execz .LBB1_8
; %bb.3:
	v_mov_b32_e32 v0, 0
	s_mov_b32 s15, exec_lo
	s_wait_kmcnt 0x0
	global_load_b64 v[4:5], v0, s[10:11] offset:24 scope:SCOPE_SYS
	s_wait_loadcnt 0x0
	global_inv scope:SCOPE_SYS
	s_clause 0x1
	global_load_b64 v[2:3], v0, s[10:11] offset:40
	global_load_b64 v[6:7], v0, s[10:11]
	s_wait_loadcnt 0x1
	v_and_b32_e32 v2, v2, v4
	v_and_b32_e32 v3, v3, v5
	s_delay_alu instid0(VALU_DEP_1) | instskip(SKIP_1) | instid1(VALU_DEP_1)
	v_mul_u64_e32 v[2:3], 24, v[2:3]
	s_wait_loadcnt 0x0
	v_add_nc_u64_e32 v[2:3], v[6:7], v[2:3]
	global_load_b64 v[2:3], v[2:3], off scope:SCOPE_SYS
	s_wait_xcnt 0x0
	s_wait_loadcnt 0x0
	global_atomic_cmpswap_b64 v[2:3], v0, v[2:5], s[10:11] offset:24 th:TH_ATOMIC_RETURN scope:SCOPE_SYS
	s_wait_loadcnt 0x0
	global_inv scope:SCOPE_SYS
	s_wait_xcnt 0x0
	v_cmpx_ne_u64_e64 v[2:3], v[4:5]
	s_cbranch_execz .LBB1_7
; %bb.4:
	s_mov_b32 s16, 0
.LBB1_5:                                ; =>This Inner Loop Header: Depth=1
	s_sleep 1
	s_clause 0x1
	global_load_b64 v[6:7], v0, s[10:11] offset:40
	global_load_b64 v[8:9], v0, s[10:11]
	v_mov_b64_e32 v[4:5], v[2:3]
	s_wait_loadcnt 0x1
	s_delay_alu instid0(VALU_DEP_1) | instskip(SKIP_1) | instid1(VALU_DEP_1)
	v_and_b32_e32 v1, v6, v4
	s_wait_loadcnt 0x0
	v_mad_nc_u64_u32 v[2:3], v1, 24, v[8:9]
	s_delay_alu instid0(VALU_DEP_3) | instskip(NEXT) | instid1(VALU_DEP_1)
	v_and_b32_e32 v1, v7, v5
	v_mad_u32 v3, v1, 24, v3
	global_load_b64 v[2:3], v[2:3], off scope:SCOPE_SYS
	s_wait_xcnt 0x0
	s_wait_loadcnt 0x0
	global_atomic_cmpswap_b64 v[2:3], v0, v[2:5], s[10:11] offset:24 th:TH_ATOMIC_RETURN scope:SCOPE_SYS
	s_wait_loadcnt 0x0
	global_inv scope:SCOPE_SYS
	v_cmp_eq_u64_e32 vcc_lo, v[2:3], v[4:5]
	s_or_b32 s16, vcc_lo, s16
	s_wait_xcnt 0x0
	s_and_not1_b32 exec_lo, exec_lo, s16
	s_cbranch_execnz .LBB1_5
; %bb.6:
	s_or_b32 exec_lo, exec_lo, s16
.LBB1_7:
	s_delay_alu instid0(SALU_CYCLE_1)
	s_or_b32 exec_lo, exec_lo, s15
.LBB1_8:
	s_delay_alu instid0(SALU_CYCLE_1)
	s_or_b32 exec_lo, exec_lo, s12
	v_readfirstlane_b32 s16, v2
	v_mov_b32_e32 v1, 0
	v_readfirstlane_b32 s17, v3
	s_mov_b32 s15, exec_lo
	s_bcnt1_i32_b32 s12, s4
	s_wait_kmcnt 0x0
	s_clause 0x1
	global_load_b64 v[8:9], v1, s[10:11] offset:40
	global_load_b128 v[4:7], v1, s[10:11]
	s_add_co_i32 s14, s3, s14
	s_wait_loadcnt 0x1
	v_and_b32_e32 v10, s16, v8
	v_and_b32_e32 v11, s17, v9
	s_delay_alu instid0(VALU_DEP_1) | instskip(SKIP_1) | instid1(VALU_DEP_1)
	v_mul_u64_e32 v[2:3], 24, v[10:11]
	s_wait_loadcnt 0x0
	v_add_nc_u64_e32 v[8:9], v[4:5], v[2:3]
	s_and_saveexec_b32 s3, s2
	s_cbranch_execz .LBB1_10
; %bb.9:
	v_mov_b64_e32 v[2:3], 0x100000002
	v_mov_b32_e32 v0, s15
	global_store_b128 v[8:9], v[0:3], off offset:8
.LBB1_10:
	s_wait_xcnt 0x0
	s_or_b32 exec_lo, exec_lo, s3
	v_lshlrev_b64_e32 v[2:3], 12, v[10:11]
	s_mov_b32 s20, 0
	v_dual_lshlrev_b32 v0, 6, v34 :: v_dual_mov_b32 v10, 33
	s_mov_b32 s21, s20
	s_mov_b32 s22, s20
	;; [unrolled: 1-line block ×3, first 2 shown]
	s_delay_alu instid0(VALU_DEP_2)
	v_add_nc_u64_e32 v[6:7], v[6:7], v[2:3]
	v_mov_b64_e32 v[14:15], s[20:21]
	v_mov_b64_e32 v[16:17], s[22:23]
	v_dual_mov_b32 v11, v1 :: v_dual_mov_b32 v12, v1
	v_mov_b32_e32 v13, v1
	s_mov_b32 s15, s13
	v_readfirstlane_b32 s18, v6
	v_readfirstlane_b32 s19, v7
	s_clause 0x3
	global_store_b128 v0, v[10:13], s[18:19]
	global_store_b128 v0, v[14:17], s[18:19] offset:16
	global_store_b128 v0, v[14:17], s[18:19] offset:32
	;; [unrolled: 1-line block ×3, first 2 shown]
	s_wait_xcnt 0x0
	s_and_saveexec_b32 s3, s2
	s_cbranch_execz .LBB1_18
; %bb.11:
	v_dual_mov_b32 v12, 0 :: v_dual_mov_b32 v15, s17
	s_mov_b32 s18, exec_lo
	s_clause 0x1
	global_load_b64 v[16:17], v12, s[10:11] offset:32 scope:SCOPE_SYS
	global_load_b64 v[2:3], v12, s[10:11] offset:40
	s_wait_loadcnt 0x0
	v_dual_mov_b32 v14, s16 :: v_dual_bitop2_b32 v3, s17, v3 bitop3:0x40
	v_and_b32_e32 v2, s16, v2
	s_delay_alu instid0(VALU_DEP_1) | instskip(NEXT) | instid1(VALU_DEP_1)
	v_mul_u64_e32 v[2:3], 24, v[2:3]
	v_add_nc_u64_e32 v[10:11], v[4:5], v[2:3]
	global_store_b64 v[10:11], v[16:17], off
	global_wb scope:SCOPE_SYS
	s_wait_storecnt 0x0
	s_wait_xcnt 0x0
	global_atomic_cmpswap_b64 v[4:5], v12, v[14:17], s[10:11] offset:32 th:TH_ATOMIC_RETURN scope:SCOPE_SYS
	s_wait_loadcnt 0x0
	v_cmpx_ne_u64_e64 v[4:5], v[16:17]
	s_cbranch_execz .LBB1_14
; %bb.12:
	s_mov_b32 s19, 0
.LBB1_13:                               ; =>This Inner Loop Header: Depth=1
	v_dual_mov_b32 v2, s16 :: v_dual_mov_b32 v3, s17
	s_sleep 1
	global_store_b64 v[10:11], v[4:5], off
	global_wb scope:SCOPE_SYS
	s_wait_storecnt 0x0
	s_wait_xcnt 0x0
	global_atomic_cmpswap_b64 v[2:3], v12, v[2:5], s[10:11] offset:32 th:TH_ATOMIC_RETURN scope:SCOPE_SYS
	s_wait_loadcnt 0x0
	v_cmp_eq_u64_e32 vcc_lo, v[2:3], v[4:5]
	v_mov_b64_e32 v[4:5], v[2:3]
	s_or_b32 s19, vcc_lo, s19
	s_delay_alu instid0(SALU_CYCLE_1)
	s_and_not1_b32 exec_lo, exec_lo, s19
	s_cbranch_execnz .LBB1_13
.LBB1_14:
	s_or_b32 exec_lo, exec_lo, s18
	v_mov_b32_e32 v5, 0
	s_mov_b32 s19, exec_lo
	s_mov_b32 s18, exec_lo
	v_mbcnt_lo_u32_b32 v4, s19, 0
	global_load_b64 v[2:3], v5, s[10:11] offset:16
	s_wait_xcnt 0x0
	v_cmpx_eq_u32_e32 0, v4
	s_cbranch_execz .LBB1_16
; %bb.15:
	s_bcnt1_i32_b32 s19, s19
	s_delay_alu instid0(SALU_CYCLE_1)
	v_mov_b32_e32 v4, s19
	global_wb scope:SCOPE_SYS
	s_wait_loadcnt 0x0
	s_wait_storecnt 0x0
	global_atomic_add_u64 v[2:3], v[4:5], off offset:8 scope:SCOPE_SYS
.LBB1_16:
	s_wait_xcnt 0x0
	s_or_b32 exec_lo, exec_lo, s18
	s_wait_loadcnt 0x0
	global_load_b64 v[4:5], v[2:3], off offset:16
	s_wait_loadcnt 0x0
	v_cmp_eq_u64_e32 vcc_lo, 0, v[4:5]
	s_cbranch_vccnz .LBB1_18
; %bb.17:
	global_load_b32 v2, v[2:3], off offset:24
	s_wait_xcnt 0x0
	v_mov_b32_e32 v3, 0
	s_wait_loadcnt 0x0
	v_readfirstlane_b32 s18, v2
	global_wb scope:SCOPE_SYS
	s_wait_storecnt 0x0
	global_store_b64 v[4:5], v[2:3], off scope:SCOPE_SYS
	s_and_b32 m0, s18, 0xffffff
	s_sendmsg sendmsg(MSG_INTERRUPT)
.LBB1_18:
	s_wait_xcnt 0x0
	s_or_b32 exec_lo, exec_lo, s3
	v_add_nc_u64_e32 v[2:3], v[6:7], v[0:1]
	s_mul_u64 s[14:15], s[12:13], s[14:15]
	s_branch .LBB1_22
.LBB1_19:                               ;   in Loop: Header=BB1_22 Depth=1
	s_wait_xcnt 0x0
	s_or_b32 exec_lo, exec_lo, s3
	s_delay_alu instid0(VALU_DEP_1)
	v_readfirstlane_b32 s3, v1
	s_cmp_eq_u32 s3, 0
	s_cbranch_scc1 .LBB1_21
; %bb.20:                               ;   in Loop: Header=BB1_22 Depth=1
	s_sleep 1
	s_cbranch_execnz .LBB1_22
	s_branch .LBB1_24
.LBB1_21:
	s_branch .LBB1_24
.LBB1_22:                               ; =>This Inner Loop Header: Depth=1
	v_mov_b32_e32 v1, 1
	s_and_saveexec_b32 s3, s2
	s_cbranch_execz .LBB1_19
; %bb.23:                               ;   in Loop: Header=BB1_22 Depth=1
	global_load_b32 v1, v[8:9], off offset:20 scope:SCOPE_SYS
	s_wait_loadcnt 0x0
	global_inv scope:SCOPE_SYS
	v_and_b32_e32 v1, 1, v1
	s_branch .LBB1_19
.LBB1_24:
	global_load_b64 v[2:3], v[2:3], off
	s_wait_xcnt 0x0
	s_and_saveexec_b32 s13, s2
	s_cbranch_execz .LBB1_28
; %bb.25:
	v_mov_b32_e32 v1, 0
	s_clause 0x2
	global_load_b64 v[4:5], v1, s[10:11] offset:40
	global_load_b64 v[12:13], v1, s[10:11] offset:24 scope:SCOPE_SYS
	global_load_b64 v[6:7], v1, s[10:11]
	s_wait_loadcnt 0x2
	v_readfirstlane_b32 s18, v4
	v_readfirstlane_b32 s19, v5
	s_add_nc_u64 s[2:3], s[18:19], 1
	s_delay_alu instid0(SALU_CYCLE_1) | instskip(NEXT) | instid1(SALU_CYCLE_1)
	s_add_nc_u64 s[16:17], s[2:3], s[16:17]
	s_cmp_eq_u64 s[16:17], 0
	s_cselect_b32 s3, s3, s17
	s_cselect_b32 s2, s2, s16
	v_mov_b32_e32 v11, s3
	s_and_b64 s[16:17], s[2:3], s[18:19]
	v_mov_b32_e32 v10, s2
	s_mul_u64 s[16:17], s[16:17], 24
	s_wait_loadcnt 0x0
	v_add_nc_u64_e32 v[8:9], s[16:17], v[6:7]
	global_store_b64 v[8:9], v[12:13], off
	global_wb scope:SCOPE_SYS
	s_wait_storecnt 0x0
	s_wait_xcnt 0x0
	global_atomic_cmpswap_b64 v[6:7], v1, v[10:13], s[10:11] offset:24 th:TH_ATOMIC_RETURN scope:SCOPE_SYS
	s_wait_loadcnt 0x0
	v_cmp_ne_u64_e32 vcc_lo, v[6:7], v[12:13]
	s_and_b32 exec_lo, exec_lo, vcc_lo
	s_cbranch_execz .LBB1_28
; %bb.26:
	s_mov_b32 s14, 0
.LBB1_27:                               ; =>This Inner Loop Header: Depth=1
	v_dual_mov_b32 v4, s2 :: v_dual_mov_b32 v5, s3
	s_sleep 1
	global_store_b64 v[8:9], v[6:7], off
	global_wb scope:SCOPE_SYS
	s_wait_storecnt 0x0
	s_wait_xcnt 0x0
	global_atomic_cmpswap_b64 v[4:5], v1, v[4:7], s[10:11] offset:24 th:TH_ATOMIC_RETURN scope:SCOPE_SYS
	s_wait_loadcnt 0x0
	v_cmp_eq_u64_e32 vcc_lo, v[4:5], v[6:7]
	v_mov_b64_e32 v[6:7], v[4:5]
	s_or_b32 s14, vcc_lo, s14
	s_delay_alu instid0(SALU_CYCLE_1)
	s_and_not1_b32 exec_lo, exec_lo, s14
	s_cbranch_execnz .LBB1_27
.LBB1_28:
	s_or_b32 exec_lo, exec_lo, s13
	s_get_pc_i64 s[16:17]
	s_add_nc_u64 s[16:17], s[16:17], .str@rel64+4
	s_delay_alu instid0(SALU_CYCLE_1)
	s_cmp_lg_u64 s[16:17], 0
	s_cbranch_scc0 .LBB1_107
; %bb.29:
	v_mov_b64_e32 v[10:11], 0x100000002
	s_wait_loadcnt 0x0
	v_dual_mov_b32 v9, 0 :: v_dual_bitop2_b32 v28, 2, v2 bitop3:0x40
	v_dual_mov_b32 v5, v3 :: v_dual_bitop2_b32 v4, -3, v2 bitop3:0x40
	s_mov_b64 s[18:19], 48
	s_branch .LBB1_31
.LBB1_30:                               ;   in Loop: Header=BB1_31 Depth=1
	s_or_b32 exec_lo, exec_lo, s13
	s_sub_nc_u64 s[18:19], s[18:19], s[20:21]
	s_add_nc_u64 s[16:17], s[16:17], s[20:21]
	s_cmp_lg_u64 s[18:19], 0
	s_cbranch_scc0 .LBB1_106
.LBB1_31:                               ; =>This Loop Header: Depth=1
                                        ;     Child Loop BB1_34 Depth 2
                                        ;     Child Loop BB1_41 Depth 2
                                        ;     Child Loop BB1_48 Depth 2
                                        ;     Child Loop BB1_55 Depth 2
                                        ;     Child Loop BB1_62 Depth 2
                                        ;     Child Loop BB1_69 Depth 2
                                        ;     Child Loop BB1_76 Depth 2
                                        ;     Child Loop BB1_83 Depth 2
                                        ;     Child Loop BB1_91 Depth 2
                                        ;     Child Loop BB1_100 Depth 2
                                        ;     Child Loop BB1_105 Depth 2
	v_min_u64 v[6:7], s[18:19], 56
	v_cmp_gt_u64_e64 s2, s[18:19], 7
	s_and_b32 vcc_lo, exec_lo, s2
	v_readfirstlane_b32 s20, v6
	v_readfirstlane_b32 s21, v7
	s_cbranch_vccnz .LBB1_36
; %bb.32:                               ;   in Loop: Header=BB1_31 Depth=1
	v_mov_b64_e32 v[6:7], 0
	s_cmp_eq_u64 s[18:19], 0
	s_cbranch_scc1 .LBB1_35
; %bb.33:                               ;   in Loop: Header=BB1_31 Depth=1
	s_mov_b64 s[2:3], 0
	s_mov_b64 s[22:23], 0
.LBB1_34:                               ;   Parent Loop BB1_31 Depth=1
                                        ; =>  This Inner Loop Header: Depth=2
	s_wait_xcnt 0x0
	s_add_nc_u64 s[24:25], s[16:17], s[22:23]
	s_add_nc_u64 s[22:23], s[22:23], 1
	global_load_u8 v1, v9, s[24:25]
	s_cmp_lg_u32 s20, s22
	s_wait_loadcnt 0x0
	v_and_b32_e32 v8, 0xffff, v1
	s_delay_alu instid0(VALU_DEP_1) | instskip(SKIP_1) | instid1(VALU_DEP_1)
	v_lshlrev_b64_e32 v[12:13], s2, v[8:9]
	s_add_nc_u64 s[2:3], s[2:3], 8
	v_or_b32_e32 v6, v12, v6
	s_delay_alu instid0(VALU_DEP_2)
	v_or_b32_e32 v7, v13, v7
	s_cbranch_scc1 .LBB1_34
.LBB1_35:                               ;   in Loop: Header=BB1_31 Depth=1
	s_mov_b64 s[22:23], s[16:17]
	s_mov_b32 s13, 0
	s_cbranch_execz .LBB1_37
	s_branch .LBB1_38
.LBB1_36:                               ;   in Loop: Header=BB1_31 Depth=1
	s_add_nc_u64 s[22:23], s[16:17], 8
                                        ; kill: def $vgpr6_vgpr7 killed $sgpr0_sgpr1 killed $exec
	s_mov_b32 s13, 0
.LBB1_37:                               ;   in Loop: Header=BB1_31 Depth=1
	global_load_b64 v[6:7], v9, s[16:17]
	s_add_co_i32 s13, s20, -8
.LBB1_38:                               ;   in Loop: Header=BB1_31 Depth=1
	s_delay_alu instid0(SALU_CYCLE_1)
	s_cmp_gt_u32 s13, 7
	s_cbranch_scc1 .LBB1_43
; %bb.39:                               ;   in Loop: Header=BB1_31 Depth=1
	v_mov_b64_e32 v[12:13], 0
	s_cmp_eq_u32 s13, 0
	s_cbranch_scc1 .LBB1_42
; %bb.40:                               ;   in Loop: Header=BB1_31 Depth=1
	s_mov_b64 s[2:3], 0
	s_wait_xcnt 0x0
	s_mov_b64 s[24:25], 0
.LBB1_41:                               ;   Parent Loop BB1_31 Depth=1
                                        ; =>  This Inner Loop Header: Depth=2
	s_wait_xcnt 0x0
	s_add_nc_u64 s[26:27], s[22:23], s[24:25]
	s_add_nc_u64 s[24:25], s[24:25], 1
	global_load_u8 v1, v9, s[26:27]
	s_cmp_lg_u32 s13, s24
	s_wait_loadcnt 0x0
	v_and_b32_e32 v8, 0xffff, v1
	s_delay_alu instid0(VALU_DEP_1) | instskip(SKIP_1) | instid1(VALU_DEP_1)
	v_lshlrev_b64_e32 v[14:15], s2, v[8:9]
	s_add_nc_u64 s[2:3], s[2:3], 8
	v_or_b32_e32 v12, v14, v12
	s_delay_alu instid0(VALU_DEP_2)
	v_or_b32_e32 v13, v15, v13
	s_cbranch_scc1 .LBB1_41
.LBB1_42:                               ;   in Loop: Header=BB1_31 Depth=1
	s_mov_b64 s[2:3], s[22:23]
	s_mov_b32 s14, 0
	s_cbranch_execz .LBB1_44
	s_branch .LBB1_45
.LBB1_43:                               ;   in Loop: Header=BB1_31 Depth=1
	s_add_nc_u64 s[2:3], s[22:23], 8
                                        ; implicit-def: $vgpr12_vgpr13
	s_mov_b32 s14, 0
.LBB1_44:                               ;   in Loop: Header=BB1_31 Depth=1
	global_load_b64 v[12:13], v9, s[22:23]
	s_add_co_i32 s14, s13, -8
.LBB1_45:                               ;   in Loop: Header=BB1_31 Depth=1
	s_delay_alu instid0(SALU_CYCLE_1)
	s_cmp_gt_u32 s14, 7
	s_cbranch_scc1 .LBB1_50
; %bb.46:                               ;   in Loop: Header=BB1_31 Depth=1
	v_mov_b64_e32 v[14:15], 0
	s_cmp_eq_u32 s14, 0
	s_cbranch_scc1 .LBB1_49
; %bb.47:                               ;   in Loop: Header=BB1_31 Depth=1
	s_wait_xcnt 0x0
	s_mov_b64 s[22:23], 0
	s_mov_b64 s[24:25], 0
.LBB1_48:                               ;   Parent Loop BB1_31 Depth=1
                                        ; =>  This Inner Loop Header: Depth=2
	s_wait_xcnt 0x0
	s_add_nc_u64 s[26:27], s[2:3], s[24:25]
	s_add_nc_u64 s[24:25], s[24:25], 1
	global_load_u8 v1, v9, s[26:27]
	s_cmp_lg_u32 s14, s24
	s_wait_loadcnt 0x0
	v_and_b32_e32 v8, 0xffff, v1
	s_delay_alu instid0(VALU_DEP_1) | instskip(SKIP_1) | instid1(VALU_DEP_1)
	v_lshlrev_b64_e32 v[16:17], s22, v[8:9]
	s_add_nc_u64 s[22:23], s[22:23], 8
	v_or_b32_e32 v14, v16, v14
	s_delay_alu instid0(VALU_DEP_2)
	v_or_b32_e32 v15, v17, v15
	s_cbranch_scc1 .LBB1_48
.LBB1_49:                               ;   in Loop: Header=BB1_31 Depth=1
	s_wait_xcnt 0x0
	s_mov_b64 s[22:23], s[2:3]
	s_mov_b32 s13, 0
	s_cbranch_execz .LBB1_51
	s_branch .LBB1_52
.LBB1_50:                               ;   in Loop: Header=BB1_31 Depth=1
	s_wait_xcnt 0x0
	s_add_nc_u64 s[22:23], s[2:3], 8
                                        ; kill: def $vgpr14_vgpr15 killed $sgpr0_sgpr1 killed $exec
	s_mov_b32 s13, 0
.LBB1_51:                               ;   in Loop: Header=BB1_31 Depth=1
	global_load_b64 v[14:15], v9, s[2:3]
	s_add_co_i32 s13, s14, -8
.LBB1_52:                               ;   in Loop: Header=BB1_31 Depth=1
	s_delay_alu instid0(SALU_CYCLE_1)
	s_cmp_gt_u32 s13, 7
	s_cbranch_scc1 .LBB1_57
; %bb.53:                               ;   in Loop: Header=BB1_31 Depth=1
	v_mov_b64_e32 v[16:17], 0
	s_cmp_eq_u32 s13, 0
	s_cbranch_scc1 .LBB1_56
; %bb.54:                               ;   in Loop: Header=BB1_31 Depth=1
	s_wait_xcnt 0x0
	s_mov_b64 s[2:3], 0
	s_mov_b64 s[24:25], 0
.LBB1_55:                               ;   Parent Loop BB1_31 Depth=1
                                        ; =>  This Inner Loop Header: Depth=2
	s_wait_xcnt 0x0
	s_add_nc_u64 s[26:27], s[22:23], s[24:25]
	s_add_nc_u64 s[24:25], s[24:25], 1
	global_load_u8 v1, v9, s[26:27]
	s_cmp_lg_u32 s13, s24
	s_wait_loadcnt 0x0
	v_and_b32_e32 v8, 0xffff, v1
	s_delay_alu instid0(VALU_DEP_1) | instskip(SKIP_1) | instid1(VALU_DEP_1)
	v_lshlrev_b64_e32 v[18:19], s2, v[8:9]
	s_add_nc_u64 s[2:3], s[2:3], 8
	v_or_b32_e32 v16, v18, v16
	s_delay_alu instid0(VALU_DEP_2)
	v_or_b32_e32 v17, v19, v17
	s_cbranch_scc1 .LBB1_55
.LBB1_56:                               ;   in Loop: Header=BB1_31 Depth=1
	s_wait_xcnt 0x0
	s_mov_b64 s[2:3], s[22:23]
	s_mov_b32 s14, 0
	s_cbranch_execz .LBB1_58
	s_branch .LBB1_59
.LBB1_57:                               ;   in Loop: Header=BB1_31 Depth=1
	s_wait_xcnt 0x0
	s_add_nc_u64 s[2:3], s[22:23], 8
                                        ; implicit-def: $vgpr16_vgpr17
	s_mov_b32 s14, 0
.LBB1_58:                               ;   in Loop: Header=BB1_31 Depth=1
	global_load_b64 v[16:17], v9, s[22:23]
	s_add_co_i32 s14, s13, -8
.LBB1_59:                               ;   in Loop: Header=BB1_31 Depth=1
	s_delay_alu instid0(SALU_CYCLE_1)
	s_cmp_gt_u32 s14, 7
	s_cbranch_scc1 .LBB1_64
; %bb.60:                               ;   in Loop: Header=BB1_31 Depth=1
	v_mov_b64_e32 v[18:19], 0
	s_cmp_eq_u32 s14, 0
	s_cbranch_scc1 .LBB1_63
; %bb.61:                               ;   in Loop: Header=BB1_31 Depth=1
	s_wait_xcnt 0x0
	s_mov_b64 s[22:23], 0
	s_mov_b64 s[24:25], 0
.LBB1_62:                               ;   Parent Loop BB1_31 Depth=1
                                        ; =>  This Inner Loop Header: Depth=2
	s_wait_xcnt 0x0
	s_add_nc_u64 s[26:27], s[2:3], s[24:25]
	s_add_nc_u64 s[24:25], s[24:25], 1
	global_load_u8 v1, v9, s[26:27]
	s_cmp_lg_u32 s14, s24
	s_wait_loadcnt 0x0
	v_and_b32_e32 v8, 0xffff, v1
	s_delay_alu instid0(VALU_DEP_1) | instskip(SKIP_1) | instid1(VALU_DEP_1)
	v_lshlrev_b64_e32 v[20:21], s22, v[8:9]
	s_add_nc_u64 s[22:23], s[22:23], 8
	v_or_b32_e32 v18, v20, v18
	s_delay_alu instid0(VALU_DEP_2)
	v_or_b32_e32 v19, v21, v19
	s_cbranch_scc1 .LBB1_62
.LBB1_63:                               ;   in Loop: Header=BB1_31 Depth=1
	s_wait_xcnt 0x0
	s_mov_b64 s[22:23], s[2:3]
	s_mov_b32 s13, 0
	s_cbranch_execz .LBB1_65
	s_branch .LBB1_66
.LBB1_64:                               ;   in Loop: Header=BB1_31 Depth=1
	s_wait_xcnt 0x0
	s_add_nc_u64 s[22:23], s[2:3], 8
                                        ; kill: def $vgpr18_vgpr19 killed $sgpr0_sgpr1 killed $exec
	s_mov_b32 s13, 0
.LBB1_65:                               ;   in Loop: Header=BB1_31 Depth=1
	global_load_b64 v[18:19], v9, s[2:3]
	s_add_co_i32 s13, s14, -8
.LBB1_66:                               ;   in Loop: Header=BB1_31 Depth=1
	s_delay_alu instid0(SALU_CYCLE_1)
	s_cmp_gt_u32 s13, 7
	s_cbranch_scc1 .LBB1_71
; %bb.67:                               ;   in Loop: Header=BB1_31 Depth=1
	v_mov_b64_e32 v[20:21], 0
	s_cmp_eq_u32 s13, 0
	s_cbranch_scc1 .LBB1_70
; %bb.68:                               ;   in Loop: Header=BB1_31 Depth=1
	s_wait_xcnt 0x0
	s_mov_b64 s[2:3], 0
	s_mov_b64 s[24:25], 0
.LBB1_69:                               ;   Parent Loop BB1_31 Depth=1
                                        ; =>  This Inner Loop Header: Depth=2
	s_wait_xcnt 0x0
	s_add_nc_u64 s[26:27], s[22:23], s[24:25]
	s_add_nc_u64 s[24:25], s[24:25], 1
	global_load_u8 v1, v9, s[26:27]
	s_cmp_lg_u32 s13, s24
	s_wait_loadcnt 0x0
	v_and_b32_e32 v8, 0xffff, v1
	s_delay_alu instid0(VALU_DEP_1) | instskip(SKIP_1) | instid1(VALU_DEP_1)
	v_lshlrev_b64_e32 v[22:23], s2, v[8:9]
	s_add_nc_u64 s[2:3], s[2:3], 8
	v_or_b32_e32 v20, v22, v20
	s_delay_alu instid0(VALU_DEP_2)
	v_or_b32_e32 v21, v23, v21
	s_cbranch_scc1 .LBB1_69
.LBB1_70:                               ;   in Loop: Header=BB1_31 Depth=1
	s_wait_xcnt 0x0
	s_mov_b64 s[2:3], s[22:23]
	s_mov_b32 s14, 0
	s_cbranch_execz .LBB1_72
	s_branch .LBB1_73
.LBB1_71:                               ;   in Loop: Header=BB1_31 Depth=1
	s_wait_xcnt 0x0
	s_add_nc_u64 s[2:3], s[22:23], 8
                                        ; implicit-def: $vgpr20_vgpr21
	s_mov_b32 s14, 0
.LBB1_72:                               ;   in Loop: Header=BB1_31 Depth=1
	global_load_b64 v[20:21], v9, s[22:23]
	s_add_co_i32 s14, s13, -8
.LBB1_73:                               ;   in Loop: Header=BB1_31 Depth=1
	s_delay_alu instid0(SALU_CYCLE_1)
	s_cmp_gt_u32 s14, 7
	s_cbranch_scc1 .LBB1_78
; %bb.74:                               ;   in Loop: Header=BB1_31 Depth=1
	v_mov_b64_e32 v[22:23], 0
	s_cmp_eq_u32 s14, 0
	s_cbranch_scc1 .LBB1_77
; %bb.75:                               ;   in Loop: Header=BB1_31 Depth=1
	s_wait_xcnt 0x0
	s_mov_b64 s[22:23], 0
	s_mov_b64 s[24:25], s[2:3]
.LBB1_76:                               ;   Parent Loop BB1_31 Depth=1
                                        ; =>  This Inner Loop Header: Depth=2
	global_load_u8 v1, v9, s[24:25]
	s_add_co_i32 s14, s14, -1
	s_wait_xcnt 0x0
	s_add_nc_u64 s[24:25], s[24:25], 1
	s_cmp_lg_u32 s14, 0
	s_wait_loadcnt 0x0
	v_and_b32_e32 v8, 0xffff, v1
	s_delay_alu instid0(VALU_DEP_1) | instskip(SKIP_1) | instid1(VALU_DEP_1)
	v_lshlrev_b64_e32 v[24:25], s22, v[8:9]
	s_add_nc_u64 s[22:23], s[22:23], 8
	v_or_b32_e32 v22, v24, v22
	s_delay_alu instid0(VALU_DEP_2)
	v_or_b32_e32 v23, v25, v23
	s_cbranch_scc1 .LBB1_76
.LBB1_77:                               ;   in Loop: Header=BB1_31 Depth=1
	s_cbranch_execz .LBB1_79
	s_branch .LBB1_80
.LBB1_78:                               ;   in Loop: Header=BB1_31 Depth=1
                                        ; kill: def $vgpr22_vgpr23 killed $sgpr0_sgpr1 killed $exec
.LBB1_79:                               ;   in Loop: Header=BB1_31 Depth=1
	global_load_b64 v[22:23], v9, s[2:3]
.LBB1_80:                               ;   in Loop: Header=BB1_31 Depth=1
	s_wait_xcnt 0x0
	v_readfirstlane_b32 s2, v34
	v_mov_b64_e32 v[30:31], 0
	s_delay_alu instid0(VALU_DEP_2)
	v_cmp_eq_u32_e64 s2, s2, v34
	s_and_saveexec_b32 s3, s2
	s_cbranch_execz .LBB1_86
; %bb.81:                               ;   in Loop: Header=BB1_31 Depth=1
	global_load_b64 v[26:27], v9, s[10:11] offset:24 scope:SCOPE_SYS
	s_wait_loadcnt 0x0
	global_inv scope:SCOPE_SYS
	s_clause 0x1
	global_load_b64 v[24:25], v9, s[10:11] offset:40
	global_load_b64 v[30:31], v9, s[10:11]
	s_mov_b32 s13, exec_lo
	s_wait_loadcnt 0x1
	v_and_b32_e32 v24, v24, v26
	v_and_b32_e32 v25, v25, v27
	s_delay_alu instid0(VALU_DEP_1) | instskip(SKIP_1) | instid1(VALU_DEP_1)
	v_mul_u64_e32 v[24:25], 24, v[24:25]
	s_wait_loadcnt 0x0
	v_add_nc_u64_e32 v[24:25], v[30:31], v[24:25]
	global_load_b64 v[24:25], v[24:25], off scope:SCOPE_SYS
	s_wait_xcnt 0x0
	s_wait_loadcnt 0x0
	global_atomic_cmpswap_b64 v[30:31], v9, v[24:27], s[10:11] offset:24 th:TH_ATOMIC_RETURN scope:SCOPE_SYS
	s_wait_loadcnt 0x0
	global_inv scope:SCOPE_SYS
	s_wait_xcnt 0x0
	v_cmpx_ne_u64_e64 v[30:31], v[26:27]
	s_cbranch_execz .LBB1_85
; %bb.82:                               ;   in Loop: Header=BB1_31 Depth=1
	s_mov_b32 s14, 0
.LBB1_83:                               ;   Parent Loop BB1_31 Depth=1
                                        ; =>  This Inner Loop Header: Depth=2
	s_sleep 1
	s_clause 0x1
	global_load_b64 v[24:25], v9, s[10:11] offset:40
	global_load_b64 v[32:33], v9, s[10:11]
	v_mov_b64_e32 v[26:27], v[30:31]
	s_wait_loadcnt 0x1
	s_delay_alu instid0(VALU_DEP_1) | instskip(SKIP_1) | instid1(VALU_DEP_1)
	v_and_b32_e32 v1, v24, v26
	s_wait_loadcnt 0x0
	v_mad_nc_u64_u32 v[30:31], v1, 24, v[32:33]
	s_delay_alu instid0(VALU_DEP_3) | instskip(NEXT) | instid1(VALU_DEP_1)
	v_and_b32_e32 v1, v25, v27
	v_mad_u32 v31, v1, 24, v31
	global_load_b64 v[24:25], v[30:31], off scope:SCOPE_SYS
	s_wait_xcnt 0x0
	s_wait_loadcnt 0x0
	global_atomic_cmpswap_b64 v[30:31], v9, v[24:27], s[10:11] offset:24 th:TH_ATOMIC_RETURN scope:SCOPE_SYS
	s_wait_loadcnt 0x0
	global_inv scope:SCOPE_SYS
	v_cmp_eq_u64_e32 vcc_lo, v[30:31], v[26:27]
	s_or_b32 s14, vcc_lo, s14
	s_wait_xcnt 0x0
	s_and_not1_b32 exec_lo, exec_lo, s14
	s_cbranch_execnz .LBB1_83
; %bb.84:                               ;   in Loop: Header=BB1_31 Depth=1
	s_or_b32 exec_lo, exec_lo, s14
.LBB1_85:                               ;   in Loop: Header=BB1_31 Depth=1
	s_delay_alu instid0(SALU_CYCLE_1)
	s_or_b32 exec_lo, exec_lo, s13
.LBB1_86:                               ;   in Loop: Header=BB1_31 Depth=1
	s_delay_alu instid0(SALU_CYCLE_1)
	s_or_b32 exec_lo, exec_lo, s3
	s_clause 0x1
	global_load_b64 v[32:33], v9, s[10:11] offset:40
	global_load_b128 v[24:27], v9, s[10:11]
	v_readfirstlane_b32 s22, v30
	v_readfirstlane_b32 s23, v31
	s_mov_b32 s3, exec_lo
	s_wait_loadcnt 0x1
	v_and_b32_e32 v32, s22, v32
	v_and_b32_e32 v33, s23, v33
	s_delay_alu instid0(VALU_DEP_1) | instskip(SKIP_1) | instid1(VALU_DEP_1)
	v_mul_u64_e32 v[30:31], 24, v[32:33]
	s_wait_loadcnt 0x0
	v_add_nc_u64_e32 v[30:31], v[24:25], v[30:31]
	s_wait_xcnt 0x0
	s_and_saveexec_b32 s13, s2
	s_cbranch_execz .LBB1_88
; %bb.87:                               ;   in Loop: Header=BB1_31 Depth=1
	v_mov_b32_e32 v8, s3
	global_store_b128 v[30:31], v[8:11], off offset:8
.LBB1_88:                               ;   in Loop: Header=BB1_31 Depth=1
	s_wait_xcnt 0x0
	s_or_b32 exec_lo, exec_lo, s13
	v_cmp_lt_u64_e64 vcc_lo, s[18:19], 57
	v_lshlrev_b64_e32 v[32:33], 12, v[32:33]
	v_and_b32_e32 v4, 0xffffff1f, v4
	s_lshl_b32 s3, s20, 2
	s_delay_alu instid0(SALU_CYCLE_1) | instskip(SKIP_1) | instid1(VALU_DEP_3)
	s_add_co_i32 s3, s3, 28
	v_cndmask_b32_e32 v1, 0, v28, vcc_lo
	v_add_nc_u64_e32 v[26:27], v[26:27], v[32:33]
	s_delay_alu instid0(VALU_DEP_2) | instskip(NEXT) | instid1(VALU_DEP_2)
	v_or_b32_e32 v1, v4, v1
	v_readfirstlane_b32 s24, v26
	s_delay_alu instid0(VALU_DEP_3) | instskip(NEXT) | instid1(VALU_DEP_3)
	v_readfirstlane_b32 s25, v27
	v_and_or_b32 v4, 0x1e0, s3, v1
	s_clause 0x3
	global_store_b128 v0, v[4:7], s[24:25]
	global_store_b128 v0, v[12:15], s[24:25] offset:16
	global_store_b128 v0, v[16:19], s[24:25] offset:32
	;; [unrolled: 1-line block ×3, first 2 shown]
	s_wait_xcnt 0x0
	s_and_saveexec_b32 s3, s2
	s_cbranch_execz .LBB1_96
; %bb.89:                               ;   in Loop: Header=BB1_31 Depth=1
	s_clause 0x1
	global_load_b64 v[16:17], v9, s[10:11] offset:32 scope:SCOPE_SYS
	global_load_b64 v[4:5], v9, s[10:11] offset:40
	s_mov_b32 s13, exec_lo
	v_dual_mov_b32 v14, s22 :: v_dual_mov_b32 v15, s23
	s_wait_loadcnt 0x0
	v_and_b32_e32 v5, s23, v5
	v_and_b32_e32 v4, s22, v4
	s_delay_alu instid0(VALU_DEP_1) | instskip(NEXT) | instid1(VALU_DEP_1)
	v_mul_u64_e32 v[4:5], 24, v[4:5]
	v_add_nc_u64_e32 v[12:13], v[24:25], v[4:5]
	global_store_b64 v[12:13], v[16:17], off
	global_wb scope:SCOPE_SYS
	s_wait_storecnt 0x0
	s_wait_xcnt 0x0
	global_atomic_cmpswap_b64 v[6:7], v9, v[14:17], s[10:11] offset:32 th:TH_ATOMIC_RETURN scope:SCOPE_SYS
	s_wait_loadcnt 0x0
	v_cmpx_ne_u64_e64 v[6:7], v[16:17]
	s_cbranch_execz .LBB1_92
; %bb.90:                               ;   in Loop: Header=BB1_31 Depth=1
	s_mov_b32 s14, 0
.LBB1_91:                               ;   Parent Loop BB1_31 Depth=1
                                        ; =>  This Inner Loop Header: Depth=2
	v_dual_mov_b32 v4, s22 :: v_dual_mov_b32 v5, s23
	s_sleep 1
	global_store_b64 v[12:13], v[6:7], off
	global_wb scope:SCOPE_SYS
	s_wait_storecnt 0x0
	s_wait_xcnt 0x0
	global_atomic_cmpswap_b64 v[4:5], v9, v[4:7], s[10:11] offset:32 th:TH_ATOMIC_RETURN scope:SCOPE_SYS
	s_wait_loadcnt 0x0
	v_cmp_eq_u64_e32 vcc_lo, v[4:5], v[6:7]
	v_mov_b64_e32 v[6:7], v[4:5]
	s_or_b32 s14, vcc_lo, s14
	s_delay_alu instid0(SALU_CYCLE_1)
	s_and_not1_b32 exec_lo, exec_lo, s14
	s_cbranch_execnz .LBB1_91
.LBB1_92:                               ;   in Loop: Header=BB1_31 Depth=1
	s_or_b32 exec_lo, exec_lo, s13
	global_load_b64 v[4:5], v9, s[10:11] offset:16
	s_mov_b32 s14, exec_lo
	s_mov_b32 s13, exec_lo
	v_mbcnt_lo_u32_b32 v1, s14, 0
	s_wait_xcnt 0x0
	s_delay_alu instid0(VALU_DEP_1)
	v_cmpx_eq_u32_e32 0, v1
	s_cbranch_execz .LBB1_94
; %bb.93:                               ;   in Loop: Header=BB1_31 Depth=1
	s_bcnt1_i32_b32 s14, s14
	s_delay_alu instid0(SALU_CYCLE_1)
	v_mov_b32_e32 v8, s14
	global_wb scope:SCOPE_SYS
	s_wait_loadcnt 0x0
	s_wait_storecnt 0x0
	global_atomic_add_u64 v[4:5], v[8:9], off offset:8 scope:SCOPE_SYS
.LBB1_94:                               ;   in Loop: Header=BB1_31 Depth=1
	s_wait_xcnt 0x0
	s_or_b32 exec_lo, exec_lo, s13
	s_wait_loadcnt 0x0
	global_load_b64 v[6:7], v[4:5], off offset:16
	s_wait_loadcnt 0x0
	v_cmp_eq_u64_e32 vcc_lo, 0, v[6:7]
	s_cbranch_vccnz .LBB1_96
; %bb.95:                               ;   in Loop: Header=BB1_31 Depth=1
	global_load_b32 v8, v[4:5], off offset:24
	s_wait_loadcnt 0x0
	v_readfirstlane_b32 s13, v8
	global_wb scope:SCOPE_SYS
	s_wait_storecnt 0x0
	s_wait_xcnt 0x0
	global_store_b64 v[6:7], v[8:9], off scope:SCOPE_SYS
	s_and_b32 m0, s13, 0xffffff
	s_sendmsg sendmsg(MSG_INTERRUPT)
.LBB1_96:                               ;   in Loop: Header=BB1_31 Depth=1
	s_wait_xcnt 0x0
	s_or_b32 exec_lo, exec_lo, s3
	v_mov_b32_e32 v1, v9
	s_delay_alu instid0(VALU_DEP_1)
	v_add_nc_u64_e32 v[4:5], v[26:27], v[0:1]
	s_branch .LBB1_100
.LBB1_97:                               ;   in Loop: Header=BB1_100 Depth=2
	s_wait_xcnt 0x0
	s_or_b32 exec_lo, exec_lo, s3
	s_delay_alu instid0(VALU_DEP_1)
	v_readfirstlane_b32 s3, v1
	s_cmp_eq_u32 s3, 0
	s_cbranch_scc1 .LBB1_99
; %bb.98:                               ;   in Loop: Header=BB1_100 Depth=2
	s_sleep 1
	s_cbranch_execnz .LBB1_100
	s_branch .LBB1_102
.LBB1_99:                               ;   in Loop: Header=BB1_31 Depth=1
	s_branch .LBB1_102
.LBB1_100:                              ;   Parent Loop BB1_31 Depth=1
                                        ; =>  This Inner Loop Header: Depth=2
	v_mov_b32_e32 v1, 1
	s_and_saveexec_b32 s3, s2
	s_cbranch_execz .LBB1_97
; %bb.101:                              ;   in Loop: Header=BB1_100 Depth=2
	global_load_b32 v1, v[30:31], off offset:20 scope:SCOPE_SYS
	s_wait_loadcnt 0x0
	global_inv scope:SCOPE_SYS
	v_and_b32_e32 v1, 1, v1
	s_branch .LBB1_97
.LBB1_102:                              ;   in Loop: Header=BB1_31 Depth=1
	global_load_b64 v[4:5], v[4:5], off
	s_wait_xcnt 0x0
	s_and_saveexec_b32 s13, s2
	s_cbranch_execz .LBB1_30
; %bb.103:                              ;   in Loop: Header=BB1_31 Depth=1
	s_clause 0x2
	global_load_b64 v[6:7], v9, s[10:11] offset:40
	global_load_b64 v[16:17], v9, s[10:11] offset:24 scope:SCOPE_SYS
	global_load_b64 v[12:13], v9, s[10:11]
	s_wait_loadcnt 0x2
	v_readfirstlane_b32 s24, v6
	v_readfirstlane_b32 s25, v7
	s_add_nc_u64 s[2:3], s[24:25], 1
	s_delay_alu instid0(SALU_CYCLE_1) | instskip(NEXT) | instid1(SALU_CYCLE_1)
	s_add_nc_u64 s[22:23], s[2:3], s[22:23]
	s_cmp_eq_u64 s[22:23], 0
	s_cselect_b32 s3, s3, s23
	s_cselect_b32 s2, s2, s22
	s_delay_alu instid0(SALU_CYCLE_1) | instskip(SKIP_1) | instid1(SALU_CYCLE_1)
	v_dual_mov_b32 v15, s3 :: v_dual_mov_b32 v14, s2
	s_and_b64 s[22:23], s[2:3], s[24:25]
	s_mul_u64 s[22:23], s[22:23], 24
	s_wait_loadcnt 0x0
	v_add_nc_u64_e32 v[6:7], s[22:23], v[12:13]
	global_store_b64 v[6:7], v[16:17], off
	global_wb scope:SCOPE_SYS
	s_wait_storecnt 0x0
	s_wait_xcnt 0x0
	global_atomic_cmpswap_b64 v[14:15], v9, v[14:17], s[10:11] offset:24 th:TH_ATOMIC_RETURN scope:SCOPE_SYS
	s_wait_loadcnt 0x0
	v_cmp_ne_u64_e32 vcc_lo, v[14:15], v[16:17]
	s_and_b32 exec_lo, exec_lo, vcc_lo
	s_cbranch_execz .LBB1_30
; %bb.104:                              ;   in Loop: Header=BB1_31 Depth=1
	s_mov_b32 s14, 0
.LBB1_105:                              ;   Parent Loop BB1_31 Depth=1
                                        ; =>  This Inner Loop Header: Depth=2
	v_dual_mov_b32 v12, s2 :: v_dual_mov_b32 v13, s3
	s_sleep 1
	global_store_b64 v[6:7], v[14:15], off
	global_wb scope:SCOPE_SYS
	s_wait_storecnt 0x0
	s_wait_xcnt 0x0
	global_atomic_cmpswap_b64 v[12:13], v9, v[12:15], s[10:11] offset:24 th:TH_ATOMIC_RETURN scope:SCOPE_SYS
	s_wait_loadcnt 0x0
	v_cmp_eq_u64_e32 vcc_lo, v[12:13], v[14:15]
	v_mov_b64_e32 v[14:15], v[12:13]
	s_or_b32 s14, vcc_lo, s14
	s_delay_alu instid0(SALU_CYCLE_1)
	s_and_not1_b32 exec_lo, exec_lo, s14
	s_cbranch_execnz .LBB1_105
	s_branch .LBB1_30
.LBB1_106:
	s_branch .LBB1_135
.LBB1_107:
                                        ; implicit-def: $vgpr4_vgpr5
	s_cbranch_execz .LBB1_135
; %bb.108:
	v_readfirstlane_b32 s2, v34
	s_wait_loadcnt 0x0
	v_mov_b64_e32 v[4:5], 0
	s_delay_alu instid0(VALU_DEP_2)
	v_cmp_eq_u32_e64 s2, s2, v34
	s_and_saveexec_b32 s3, s2
	s_cbranch_execz .LBB1_114
; %bb.109:
	v_mov_b32_e32 v1, 0
	s_mov_b32 s13, exec_lo
	global_load_b64 v[6:7], v1, s[10:11] offset:24 scope:SCOPE_SYS
	s_wait_loadcnt 0x0
	global_inv scope:SCOPE_SYS
	s_clause 0x1
	global_load_b64 v[4:5], v1, s[10:11] offset:40
	global_load_b64 v[8:9], v1, s[10:11]
	s_wait_loadcnt 0x1
	v_and_b32_e32 v4, v4, v6
	v_and_b32_e32 v5, v5, v7
	s_delay_alu instid0(VALU_DEP_1) | instskip(SKIP_1) | instid1(VALU_DEP_1)
	v_mul_u64_e32 v[4:5], 24, v[4:5]
	s_wait_loadcnt 0x0
	v_add_nc_u64_e32 v[4:5], v[8:9], v[4:5]
	global_load_b64 v[4:5], v[4:5], off scope:SCOPE_SYS
	s_wait_xcnt 0x0
	s_wait_loadcnt 0x0
	global_atomic_cmpswap_b64 v[4:5], v1, v[4:7], s[10:11] offset:24 th:TH_ATOMIC_RETURN scope:SCOPE_SYS
	s_wait_loadcnt 0x0
	global_inv scope:SCOPE_SYS
	s_wait_xcnt 0x0
	v_cmpx_ne_u64_e64 v[4:5], v[6:7]
	s_cbranch_execz .LBB1_113
; %bb.110:
	s_mov_b32 s14, 0
.LBB1_111:                              ; =>This Inner Loop Header: Depth=1
	s_sleep 1
	s_clause 0x1
	global_load_b64 v[8:9], v1, s[10:11] offset:40
	global_load_b64 v[10:11], v1, s[10:11]
	v_mov_b64_e32 v[6:7], v[4:5]
	s_wait_loadcnt 0x1
	s_delay_alu instid0(VALU_DEP_1) | instskip(NEXT) | instid1(VALU_DEP_2)
	v_and_b32_e32 v4, v8, v6
	v_and_b32_e32 v8, v9, v7
	s_wait_loadcnt 0x0
	s_delay_alu instid0(VALU_DEP_2) | instskip(NEXT) | instid1(VALU_DEP_1)
	v_mad_nc_u64_u32 v[4:5], v4, 24, v[10:11]
	v_mad_u32 v5, v8, 24, v5
	global_load_b64 v[4:5], v[4:5], off scope:SCOPE_SYS
	s_wait_xcnt 0x0
	s_wait_loadcnt 0x0
	global_atomic_cmpswap_b64 v[4:5], v1, v[4:7], s[10:11] offset:24 th:TH_ATOMIC_RETURN scope:SCOPE_SYS
	s_wait_loadcnt 0x0
	global_inv scope:SCOPE_SYS
	v_cmp_eq_u64_e32 vcc_lo, v[4:5], v[6:7]
	s_or_b32 s14, vcc_lo, s14
	s_wait_xcnt 0x0
	s_and_not1_b32 exec_lo, exec_lo, s14
	s_cbranch_execnz .LBB1_111
; %bb.112:
	s_or_b32 exec_lo, exec_lo, s14
.LBB1_113:
	s_delay_alu instid0(SALU_CYCLE_1)
	s_or_b32 exec_lo, exec_lo, s13
.LBB1_114:
	s_delay_alu instid0(SALU_CYCLE_1)
	s_or_b32 exec_lo, exec_lo, s3
	v_readfirstlane_b32 s16, v4
	v_mov_b32_e32 v1, 0
	v_readfirstlane_b32 s17, v5
	s_mov_b32 s3, exec_lo
	s_clause 0x1
	global_load_b64 v[10:11], v1, s[10:11] offset:40
	global_load_b128 v[6:9], v1, s[10:11]
	s_wait_loadcnt 0x1
	v_and_b32_e32 v4, s16, v10
	v_and_b32_e32 v5, s17, v11
	s_delay_alu instid0(VALU_DEP_1) | instskip(SKIP_1) | instid1(VALU_DEP_1)
	v_mul_u64_e32 v[10:11], 24, v[4:5]
	s_wait_loadcnt 0x0
	v_add_nc_u64_e32 v[10:11], v[6:7], v[10:11]
	s_wait_xcnt 0x0
	s_and_saveexec_b32 s13, s2
	s_cbranch_execz .LBB1_116
; %bb.115:
	v_mov_b64_e32 v[14:15], 0x100000002
	v_dual_mov_b32 v12, s3 :: v_dual_mov_b32 v13, v1
	global_store_b128 v[10:11], v[12:15], off offset:8
.LBB1_116:
	s_wait_xcnt 0x0
	s_or_b32 exec_lo, exec_lo, s13
	v_lshlrev_b64_e32 v[4:5], 12, v[4:5]
	s_mov_b32 s20, 0
	v_and_or_b32 v2, 0xffffff1f, v2, 32
	s_mov_b32 s21, s20
	s_mov_b32 s22, s20
	;; [unrolled: 1-line block ×3, first 2 shown]
	v_mov_b64_e32 v[12:13], s[20:21]
	v_add_nc_u64_e32 v[8:9], v[8:9], v[4:5]
	v_mov_b64_e32 v[14:15], s[22:23]
	v_dual_mov_b32 v4, v1 :: v_dual_mov_b32 v5, v1
	s_delay_alu instid0(VALU_DEP_3) | instskip(NEXT) | instid1(VALU_DEP_4)
	v_readfirstlane_b32 s18, v8
	v_readfirstlane_b32 s19, v9
	s_clause 0x3
	global_store_b128 v0, v[2:5], s[18:19]
	global_store_b128 v0, v[12:15], s[18:19] offset:16
	global_store_b128 v0, v[12:15], s[18:19] offset:32
	;; [unrolled: 1-line block ×3, first 2 shown]
	s_wait_xcnt 0x0
	s_and_saveexec_b32 s3, s2
	s_cbranch_execz .LBB1_124
; %bb.117:
	v_dual_mov_b32 v12, 0 :: v_dual_mov_b32 v15, s17
	s_mov_b32 s13, exec_lo
	s_clause 0x1
	global_load_b64 v[16:17], v12, s[10:11] offset:32 scope:SCOPE_SYS
	global_load_b64 v[2:3], v12, s[10:11] offset:40
	s_wait_loadcnt 0x0
	v_dual_mov_b32 v14, s16 :: v_dual_bitop2_b32 v3, s17, v3 bitop3:0x40
	v_and_b32_e32 v2, s16, v2
	s_delay_alu instid0(VALU_DEP_1) | instskip(NEXT) | instid1(VALU_DEP_1)
	v_mul_u64_e32 v[2:3], 24, v[2:3]
	v_add_nc_u64_e32 v[6:7], v[6:7], v[2:3]
	global_store_b64 v[6:7], v[16:17], off
	global_wb scope:SCOPE_SYS
	s_wait_storecnt 0x0
	s_wait_xcnt 0x0
	global_atomic_cmpswap_b64 v[4:5], v12, v[14:17], s[10:11] offset:32 th:TH_ATOMIC_RETURN scope:SCOPE_SYS
	s_wait_loadcnt 0x0
	v_cmpx_ne_u64_e64 v[4:5], v[16:17]
	s_cbranch_execz .LBB1_120
; %bb.118:
	s_mov_b32 s14, 0
.LBB1_119:                              ; =>This Inner Loop Header: Depth=1
	v_dual_mov_b32 v2, s16 :: v_dual_mov_b32 v3, s17
	s_sleep 1
	global_store_b64 v[6:7], v[4:5], off
	global_wb scope:SCOPE_SYS
	s_wait_storecnt 0x0
	s_wait_xcnt 0x0
	global_atomic_cmpswap_b64 v[2:3], v12, v[2:5], s[10:11] offset:32 th:TH_ATOMIC_RETURN scope:SCOPE_SYS
	s_wait_loadcnt 0x0
	v_cmp_eq_u64_e32 vcc_lo, v[2:3], v[4:5]
	v_mov_b64_e32 v[4:5], v[2:3]
	s_or_b32 s14, vcc_lo, s14
	s_delay_alu instid0(SALU_CYCLE_1)
	s_and_not1_b32 exec_lo, exec_lo, s14
	s_cbranch_execnz .LBB1_119
.LBB1_120:
	s_or_b32 exec_lo, exec_lo, s13
	v_mov_b32_e32 v5, 0
	s_mov_b32 s14, exec_lo
	s_mov_b32 s13, exec_lo
	v_mbcnt_lo_u32_b32 v4, s14, 0
	global_load_b64 v[2:3], v5, s[10:11] offset:16
	s_wait_xcnt 0x0
	v_cmpx_eq_u32_e32 0, v4
	s_cbranch_execz .LBB1_122
; %bb.121:
	s_bcnt1_i32_b32 s14, s14
	s_delay_alu instid0(SALU_CYCLE_1)
	v_mov_b32_e32 v4, s14
	global_wb scope:SCOPE_SYS
	s_wait_loadcnt 0x0
	s_wait_storecnt 0x0
	global_atomic_add_u64 v[2:3], v[4:5], off offset:8 scope:SCOPE_SYS
.LBB1_122:
	s_wait_xcnt 0x0
	s_or_b32 exec_lo, exec_lo, s13
	s_wait_loadcnt 0x0
	global_load_b64 v[4:5], v[2:3], off offset:16
	s_wait_loadcnt 0x0
	v_cmp_eq_u64_e32 vcc_lo, 0, v[4:5]
	s_cbranch_vccnz .LBB1_124
; %bb.123:
	global_load_b32 v2, v[2:3], off offset:24
	s_wait_xcnt 0x0
	v_mov_b32_e32 v3, 0
	s_wait_loadcnt 0x0
	v_readfirstlane_b32 s13, v2
	global_wb scope:SCOPE_SYS
	s_wait_storecnt 0x0
	global_store_b64 v[4:5], v[2:3], off scope:SCOPE_SYS
	s_and_b32 m0, s13, 0xffffff
	s_sendmsg sendmsg(MSG_INTERRUPT)
.LBB1_124:
	s_wait_xcnt 0x0
	s_or_b32 exec_lo, exec_lo, s3
	v_add_nc_u64_e32 v[2:3], v[8:9], v[0:1]
	s_branch .LBB1_128
.LBB1_125:                              ;   in Loop: Header=BB1_128 Depth=1
	s_wait_xcnt 0x0
	s_or_b32 exec_lo, exec_lo, s3
	s_delay_alu instid0(VALU_DEP_1)
	v_readfirstlane_b32 s3, v1
	s_cmp_eq_u32 s3, 0
	s_cbranch_scc1 .LBB1_127
; %bb.126:                              ;   in Loop: Header=BB1_128 Depth=1
	s_sleep 1
	s_cbranch_execnz .LBB1_128
	s_branch .LBB1_130
.LBB1_127:
	s_branch .LBB1_130
.LBB1_128:                              ; =>This Inner Loop Header: Depth=1
	v_mov_b32_e32 v1, 1
	s_and_saveexec_b32 s3, s2
	s_cbranch_execz .LBB1_125
; %bb.129:                              ;   in Loop: Header=BB1_128 Depth=1
	global_load_b32 v1, v[10:11], off offset:20 scope:SCOPE_SYS
	s_wait_loadcnt 0x0
	global_inv scope:SCOPE_SYS
	v_and_b32_e32 v1, 1, v1
	s_branch .LBB1_125
.LBB1_130:
	global_load_b64 v[4:5], v[2:3], off
	s_wait_xcnt 0x0
	s_and_saveexec_b32 s13, s2
	s_cbranch_execz .LBB1_134
; %bb.131:
	v_mov_b32_e32 v1, 0
	s_clause 0x2
	global_load_b64 v[2:3], v1, s[10:11] offset:40
	global_load_b64 v[10:11], v1, s[10:11] offset:24 scope:SCOPE_SYS
	global_load_b64 v[6:7], v1, s[10:11]
	s_wait_loadcnt 0x2
	v_readfirstlane_b32 s18, v2
	v_readfirstlane_b32 s19, v3
	s_add_nc_u64 s[2:3], s[18:19], 1
	s_delay_alu instid0(SALU_CYCLE_1) | instskip(NEXT) | instid1(SALU_CYCLE_1)
	s_add_nc_u64 s[16:17], s[2:3], s[16:17]
	s_cmp_eq_u64 s[16:17], 0
	s_cselect_b32 s3, s3, s17
	s_cselect_b32 s2, s2, s16
	v_mov_b32_e32 v9, s3
	s_and_b64 s[16:17], s[2:3], s[18:19]
	v_mov_b32_e32 v8, s2
	s_mul_u64 s[16:17], s[16:17], 24
	s_wait_loadcnt 0x0
	v_add_nc_u64_e32 v[2:3], s[16:17], v[6:7]
	global_store_b64 v[2:3], v[10:11], off
	global_wb scope:SCOPE_SYS
	s_wait_storecnt 0x0
	s_wait_xcnt 0x0
	global_atomic_cmpswap_b64 v[8:9], v1, v[8:11], s[10:11] offset:24 th:TH_ATOMIC_RETURN scope:SCOPE_SYS
	s_wait_loadcnt 0x0
	v_cmp_ne_u64_e32 vcc_lo, v[8:9], v[10:11]
	s_and_b32 exec_lo, exec_lo, vcc_lo
	s_cbranch_execz .LBB1_134
; %bb.132:
	s_mov_b32 s14, 0
.LBB1_133:                              ; =>This Inner Loop Header: Depth=1
	v_dual_mov_b32 v6, s2 :: v_dual_mov_b32 v7, s3
	s_sleep 1
	global_store_b64 v[2:3], v[8:9], off
	global_wb scope:SCOPE_SYS
	s_wait_storecnt 0x0
	s_wait_xcnt 0x0
	global_atomic_cmpswap_b64 v[6:7], v1, v[6:9], s[10:11] offset:24 th:TH_ATOMIC_RETURN scope:SCOPE_SYS
	s_wait_loadcnt 0x0
	v_cmp_eq_u64_e32 vcc_lo, v[6:7], v[8:9]
	v_mov_b64_e32 v[8:9], v[6:7]
	s_or_b32 s14, vcc_lo, s14
	s_delay_alu instid0(SALU_CYCLE_1)
	s_and_not1_b32 exec_lo, exec_lo, s14
	s_cbranch_execnz .LBB1_133
.LBB1_134:
	s_or_b32 exec_lo, exec_lo, s13
.LBB1_135:
	v_readfirstlane_b32 s2, v34
	s_wait_loadcnt 0x0
	v_mov_b64_e32 v[2:3], 0
	s_delay_alu instid0(VALU_DEP_2)
	v_cmp_eq_u32_e64 s2, s2, v34
	s_and_saveexec_b32 s3, s2
	s_cbranch_execz .LBB1_141
; %bb.136:
	v_mov_b32_e32 v1, 0
	s_mov_b32 s13, exec_lo
	global_load_b64 v[8:9], v1, s[10:11] offset:24 scope:SCOPE_SYS
	s_wait_loadcnt 0x0
	global_inv scope:SCOPE_SYS
	s_clause 0x1
	global_load_b64 v[2:3], v1, s[10:11] offset:40
	global_load_b64 v[6:7], v1, s[10:11]
	s_wait_loadcnt 0x1
	v_and_b32_e32 v2, v2, v8
	v_and_b32_e32 v3, v3, v9
	s_delay_alu instid0(VALU_DEP_1) | instskip(SKIP_1) | instid1(VALU_DEP_1)
	v_mul_u64_e32 v[2:3], 24, v[2:3]
	s_wait_loadcnt 0x0
	v_add_nc_u64_e32 v[2:3], v[6:7], v[2:3]
	global_load_b64 v[6:7], v[2:3], off scope:SCOPE_SYS
	s_wait_xcnt 0x0
	s_wait_loadcnt 0x0
	global_atomic_cmpswap_b64 v[2:3], v1, v[6:9], s[10:11] offset:24 th:TH_ATOMIC_RETURN scope:SCOPE_SYS
	s_wait_loadcnt 0x0
	global_inv scope:SCOPE_SYS
	s_wait_xcnt 0x0
	v_cmpx_ne_u64_e64 v[2:3], v[8:9]
	s_cbranch_execz .LBB1_140
; %bb.137:
	s_mov_b32 s14, 0
.LBB1_138:                              ; =>This Inner Loop Header: Depth=1
	s_sleep 1
	s_clause 0x1
	global_load_b64 v[6:7], v1, s[10:11] offset:40
	global_load_b64 v[10:11], v1, s[10:11]
	v_mov_b64_e32 v[8:9], v[2:3]
	s_wait_loadcnt 0x1
	s_delay_alu instid0(VALU_DEP_1) | instskip(NEXT) | instid1(VALU_DEP_2)
	v_and_b32_e32 v2, v6, v8
	v_and_b32_e32 v6, v7, v9
	s_wait_loadcnt 0x0
	s_delay_alu instid0(VALU_DEP_2) | instskip(NEXT) | instid1(VALU_DEP_1)
	v_mad_nc_u64_u32 v[2:3], v2, 24, v[10:11]
	v_mad_u32 v3, v6, 24, v3
	global_load_b64 v[6:7], v[2:3], off scope:SCOPE_SYS
	s_wait_xcnt 0x0
	s_wait_loadcnt 0x0
	global_atomic_cmpswap_b64 v[2:3], v1, v[6:9], s[10:11] offset:24 th:TH_ATOMIC_RETURN scope:SCOPE_SYS
	s_wait_loadcnt 0x0
	global_inv scope:SCOPE_SYS
	v_cmp_eq_u64_e32 vcc_lo, v[2:3], v[8:9]
	s_or_b32 s14, vcc_lo, s14
	s_wait_xcnt 0x0
	s_and_not1_b32 exec_lo, exec_lo, s14
	s_cbranch_execnz .LBB1_138
; %bb.139:
	s_or_b32 exec_lo, exec_lo, s14
.LBB1_140:
	s_delay_alu instid0(SALU_CYCLE_1)
	s_or_b32 exec_lo, exec_lo, s13
.LBB1_141:
	s_delay_alu instid0(SALU_CYCLE_1)
	s_or_b32 exec_lo, exec_lo, s3
	v_readfirstlane_b32 s16, v2
	v_mov_b32_e32 v1, 0
	v_readfirstlane_b32 s17, v3
	s_mov_b32 s3, exec_lo
	s_clause 0x1
	global_load_b64 v[6:7], v1, s[10:11] offset:40
	global_load_b128 v[8:11], v1, s[10:11]
	s_wait_loadcnt 0x1
	v_and_b32_e32 v2, s16, v6
	v_and_b32_e32 v3, s17, v7
	s_delay_alu instid0(VALU_DEP_1) | instskip(SKIP_1) | instid1(VALU_DEP_1)
	v_mul_u64_e32 v[6:7], 24, v[2:3]
	s_wait_loadcnt 0x0
	v_add_nc_u64_e32 v[12:13], v[8:9], v[6:7]
	s_wait_xcnt 0x0
	s_and_saveexec_b32 s13, s2
	s_cbranch_execz .LBB1_143
; %bb.142:
	v_mov_b64_e32 v[16:17], 0x100000002
	v_dual_mov_b32 v14, s3 :: v_dual_mov_b32 v15, v1
	global_store_b128 v[12:13], v[14:17], off offset:8
.LBB1_143:
	s_wait_xcnt 0x0
	s_or_b32 exec_lo, exec_lo, s13
	s_mul_i32 s3, s15, s6
	v_lshlrev_b64_e32 v[2:3], 12, v[2:3]
	s_sub_co_i32 s3, s12, s3
	s_add_co_i32 s12, s15, 1
	s_sub_co_i32 s13, s3, s6
	s_cmp_ge_u32 s3, s6
	v_and_or_b32 v4, 0xffffff1f, v4, 32
	s_cselect_b32 s14, s12, s15
	s_cselect_b32 s3, s13, s3
	v_add_nc_u64_e32 v[10:11], v[10:11], v[2:3]
	s_add_co_i32 s13, s14, 1
	s_cmp_ge_u32 s3, s6
	s_mov_b32 s12, 0
	s_cselect_b32 s3, s13, s14
	s_mov_b32 s14, s12
	s_mov_b32 s15, s12
	;; [unrolled: 1-line block ×3, first 2 shown]
	v_mov_b64_e32 v[16:17], s[14:15]
	v_mov_b64_e32 v[14:15], s[12:13]
	v_dual_mov_b32 v6, s3 :: v_dual_mov_b32 v7, v1
	v_readfirstlane_b32 s18, v10
	v_readfirstlane_b32 s19, v11
	s_clause 0x3
	global_store_b128 v0, v[4:7], s[18:19]
	global_store_b128 v0, v[14:17], s[18:19] offset:16
	global_store_b128 v0, v[14:17], s[18:19] offset:32
	;; [unrolled: 1-line block ×3, first 2 shown]
	s_wait_xcnt 0x0
	s_and_saveexec_b32 s3, s2
	s_cbranch_execz .LBB1_151
; %bb.144:
	v_dual_mov_b32 v14, 0 :: v_dual_mov_b32 v17, s17
	s_mov_b32 s12, exec_lo
	s_clause 0x1
	global_load_b64 v[18:19], v14, s[10:11] offset:32 scope:SCOPE_SYS
	global_load_b64 v[2:3], v14, s[10:11] offset:40
	s_wait_loadcnt 0x0
	v_dual_mov_b32 v16, s16 :: v_dual_bitop2_b32 v3, s17, v3 bitop3:0x40
	v_and_b32_e32 v2, s16, v2
	s_delay_alu instid0(VALU_DEP_1) | instskip(NEXT) | instid1(VALU_DEP_1)
	v_mul_u64_e32 v[2:3], 24, v[2:3]
	v_add_nc_u64_e32 v[6:7], v[8:9], v[2:3]
	global_store_b64 v[6:7], v[18:19], off
	global_wb scope:SCOPE_SYS
	s_wait_storecnt 0x0
	s_wait_xcnt 0x0
	global_atomic_cmpswap_b64 v[4:5], v14, v[16:19], s[10:11] offset:32 th:TH_ATOMIC_RETURN scope:SCOPE_SYS
	s_wait_loadcnt 0x0
	v_cmpx_ne_u64_e64 v[4:5], v[18:19]
	s_cbranch_execz .LBB1_147
; %bb.145:
	s_mov_b32 s13, 0
.LBB1_146:                              ; =>This Inner Loop Header: Depth=1
	v_dual_mov_b32 v2, s16 :: v_dual_mov_b32 v3, s17
	s_sleep 1
	global_store_b64 v[6:7], v[4:5], off
	global_wb scope:SCOPE_SYS
	s_wait_storecnt 0x0
	s_wait_xcnt 0x0
	global_atomic_cmpswap_b64 v[2:3], v14, v[2:5], s[10:11] offset:32 th:TH_ATOMIC_RETURN scope:SCOPE_SYS
	s_wait_loadcnt 0x0
	v_cmp_eq_u64_e32 vcc_lo, v[2:3], v[4:5]
	v_mov_b64_e32 v[4:5], v[2:3]
	s_or_b32 s13, vcc_lo, s13
	s_delay_alu instid0(SALU_CYCLE_1)
	s_and_not1_b32 exec_lo, exec_lo, s13
	s_cbranch_execnz .LBB1_146
.LBB1_147:
	s_or_b32 exec_lo, exec_lo, s12
	v_mov_b32_e32 v5, 0
	s_mov_b32 s13, exec_lo
	s_mov_b32 s12, exec_lo
	v_mbcnt_lo_u32_b32 v4, s13, 0
	global_load_b64 v[2:3], v5, s[10:11] offset:16
	s_wait_xcnt 0x0
	v_cmpx_eq_u32_e32 0, v4
	s_cbranch_execz .LBB1_149
; %bb.148:
	s_bcnt1_i32_b32 s13, s13
	s_delay_alu instid0(SALU_CYCLE_1)
	v_mov_b32_e32 v4, s13
	global_wb scope:SCOPE_SYS
	s_wait_loadcnt 0x0
	s_wait_storecnt 0x0
	global_atomic_add_u64 v[2:3], v[4:5], off offset:8 scope:SCOPE_SYS
.LBB1_149:
	s_wait_xcnt 0x0
	s_or_b32 exec_lo, exec_lo, s12
	s_wait_loadcnt 0x0
	global_load_b64 v[4:5], v[2:3], off offset:16
	s_wait_loadcnt 0x0
	v_cmp_eq_u64_e32 vcc_lo, 0, v[4:5]
	s_cbranch_vccnz .LBB1_151
; %bb.150:
	global_load_b32 v2, v[2:3], off offset:24
	s_wait_xcnt 0x0
	v_mov_b32_e32 v3, 0
	s_wait_loadcnt 0x0
	v_readfirstlane_b32 s12, v2
	global_wb scope:SCOPE_SYS
	s_wait_storecnt 0x0
	global_store_b64 v[4:5], v[2:3], off scope:SCOPE_SYS
	s_and_b32 m0, s12, 0xffffff
	s_sendmsg sendmsg(MSG_INTERRUPT)
.LBB1_151:
	s_wait_xcnt 0x0
	s_or_b32 exec_lo, exec_lo, s3
	v_add_nc_u64_e32 v[2:3], v[10:11], v[0:1]
	s_branch .LBB1_155
.LBB1_152:                              ;   in Loop: Header=BB1_155 Depth=1
	s_wait_xcnt 0x0
	s_or_b32 exec_lo, exec_lo, s3
	s_delay_alu instid0(VALU_DEP_1)
	v_readfirstlane_b32 s3, v1
	s_cmp_eq_u32 s3, 0
	s_cbranch_scc1 .LBB1_154
; %bb.153:                              ;   in Loop: Header=BB1_155 Depth=1
	s_sleep 1
	s_cbranch_execnz .LBB1_155
	s_branch .LBB1_157
.LBB1_154:
	s_branch .LBB1_157
.LBB1_155:                              ; =>This Inner Loop Header: Depth=1
	v_mov_b32_e32 v1, 1
	s_and_saveexec_b32 s3, s2
	s_cbranch_execz .LBB1_152
; %bb.156:                              ;   in Loop: Header=BB1_155 Depth=1
	global_load_b32 v1, v[12:13], off offset:20 scope:SCOPE_SYS
	s_wait_loadcnt 0x0
	global_inv scope:SCOPE_SYS
	v_and_b32_e32 v1, 1, v1
	s_branch .LBB1_152
.LBB1_157:
	global_load_b64 v[2:3], v[2:3], off
	s_wait_xcnt 0x0
	s_and_saveexec_b32 s12, s2
	s_cbranch_execz .LBB1_161
; %bb.158:
	v_mov_b32_e32 v1, 0
	s_clause 0x2
	global_load_b64 v[4:5], v1, s[10:11] offset:40
	global_load_b64 v[12:13], v1, s[10:11] offset:24 scope:SCOPE_SYS
	global_load_b64 v[6:7], v1, s[10:11]
	s_wait_loadcnt 0x2
	v_readfirstlane_b32 s14, v4
	v_readfirstlane_b32 s15, v5
	s_add_nc_u64 s[2:3], s[14:15], 1
	s_delay_alu instid0(SALU_CYCLE_1) | instskip(NEXT) | instid1(SALU_CYCLE_1)
	s_add_nc_u64 s[16:17], s[2:3], s[16:17]
	s_cmp_eq_u64 s[16:17], 0
	s_cselect_b32 s3, s3, s17
	s_cselect_b32 s2, s2, s16
	v_mov_b32_e32 v11, s3
	s_and_b64 s[14:15], s[2:3], s[14:15]
	v_mov_b32_e32 v10, s2
	s_mul_u64 s[14:15], s[14:15], 24
	s_wait_loadcnt 0x0
	v_add_nc_u64_e32 v[8:9], s[14:15], v[6:7]
	global_store_b64 v[8:9], v[12:13], off
	global_wb scope:SCOPE_SYS
	s_wait_storecnt 0x0
	s_wait_xcnt 0x0
	global_atomic_cmpswap_b64 v[6:7], v1, v[10:13], s[10:11] offset:24 th:TH_ATOMIC_RETURN scope:SCOPE_SYS
	s_wait_loadcnt 0x0
	v_cmp_ne_u64_e32 vcc_lo, v[6:7], v[12:13]
	s_and_b32 exec_lo, exec_lo, vcc_lo
	s_cbranch_execz .LBB1_161
; %bb.159:
	s_mov_b32 s13, 0
.LBB1_160:                              ; =>This Inner Loop Header: Depth=1
	v_dual_mov_b32 v4, s2 :: v_dual_mov_b32 v5, s3
	s_sleep 1
	global_store_b64 v[8:9], v[6:7], off
	global_wb scope:SCOPE_SYS
	s_wait_storecnt 0x0
	s_wait_xcnt 0x0
	global_atomic_cmpswap_b64 v[4:5], v1, v[4:7], s[10:11] offset:24 th:TH_ATOMIC_RETURN scope:SCOPE_SYS
	s_wait_loadcnt 0x0
	v_cmp_eq_u64_e32 vcc_lo, v[4:5], v[6:7]
	v_mov_b64_e32 v[6:7], v[4:5]
	s_or_b32 s13, vcc_lo, s13
	s_delay_alu instid0(SALU_CYCLE_1)
	s_and_not1_b32 exec_lo, exec_lo, s13
	s_cbranch_execnz .LBB1_160
.LBB1_161:
	s_or_b32 exec_lo, exec_lo, s12
	v_readfirstlane_b32 s2, v34
	v_mov_b64_e32 v[10:11], 0
	s_delay_alu instid0(VALU_DEP_2)
	v_cmp_eq_u32_e64 s2, s2, v34
	s_and_saveexec_b32 s3, s2
	s_cbranch_execz .LBB1_167
; %bb.162:
	v_mov_b32_e32 v1, 0
	s_mov_b32 s12, exec_lo
	global_load_b64 v[6:7], v1, s[10:11] offset:24 scope:SCOPE_SYS
	s_wait_loadcnt 0x0
	global_inv scope:SCOPE_SYS
	s_clause 0x1
	global_load_b64 v[4:5], v1, s[10:11] offset:40
	global_load_b64 v[8:9], v1, s[10:11]
	s_wait_loadcnt 0x1
	v_and_b32_e32 v4, v4, v6
	v_and_b32_e32 v5, v5, v7
	s_delay_alu instid0(VALU_DEP_1) | instskip(SKIP_1) | instid1(VALU_DEP_1)
	v_mul_u64_e32 v[4:5], 24, v[4:5]
	s_wait_loadcnt 0x0
	v_add_nc_u64_e32 v[4:5], v[8:9], v[4:5]
	global_load_b64 v[4:5], v[4:5], off scope:SCOPE_SYS
	s_wait_xcnt 0x0
	s_wait_loadcnt 0x0
	global_atomic_cmpswap_b64 v[10:11], v1, v[4:7], s[10:11] offset:24 th:TH_ATOMIC_RETURN scope:SCOPE_SYS
	s_wait_loadcnt 0x0
	global_inv scope:SCOPE_SYS
	s_wait_xcnt 0x0
	v_cmpx_ne_u64_e64 v[10:11], v[6:7]
	s_cbranch_execz .LBB1_166
; %bb.163:
	s_mov_b32 s13, 0
.LBB1_164:                              ; =>This Inner Loop Header: Depth=1
	s_sleep 1
	s_clause 0x1
	global_load_b64 v[4:5], v1, s[10:11] offset:40
	global_load_b64 v[8:9], v1, s[10:11]
	v_mov_b64_e32 v[6:7], v[10:11]
	s_wait_loadcnt 0x1
	s_delay_alu instid0(VALU_DEP_1) | instskip(SKIP_1) | instid1(VALU_DEP_1)
	v_and_b32_e32 v4, v4, v6
	s_wait_loadcnt 0x0
	v_mad_nc_u64_u32 v[8:9], v4, 24, v[8:9]
	s_delay_alu instid0(VALU_DEP_3) | instskip(NEXT) | instid1(VALU_DEP_1)
	v_and_b32_e32 v4, v5, v7
	v_mad_u32 v9, v4, 24, v9
	global_load_b64 v[4:5], v[8:9], off scope:SCOPE_SYS
	s_wait_xcnt 0x0
	s_wait_loadcnt 0x0
	global_atomic_cmpswap_b64 v[10:11], v1, v[4:7], s[10:11] offset:24 th:TH_ATOMIC_RETURN scope:SCOPE_SYS
	s_wait_loadcnt 0x0
	global_inv scope:SCOPE_SYS
	v_cmp_eq_u64_e32 vcc_lo, v[10:11], v[6:7]
	s_or_b32 s13, vcc_lo, s13
	s_wait_xcnt 0x0
	s_and_not1_b32 exec_lo, exec_lo, s13
	s_cbranch_execnz .LBB1_164
; %bb.165:
	s_or_b32 exec_lo, exec_lo, s13
.LBB1_166:
	s_delay_alu instid0(SALU_CYCLE_1)
	s_or_b32 exec_lo, exec_lo, s12
.LBB1_167:
	s_delay_alu instid0(SALU_CYCLE_1)
	s_or_b32 exec_lo, exec_lo, s3
	v_readfirstlane_b32 s12, v10
	v_mov_b32_e32 v5, 0
	v_readfirstlane_b32 s13, v11
	s_mov_b32 s3, exec_lo
	s_clause 0x1
	global_load_b64 v[12:13], v5, s[10:11] offset:40
	global_load_b128 v[6:9], v5, s[10:11]
	s_wait_loadcnt 0x1
	v_and_b32_e32 v12, s12, v12
	v_and_b32_e32 v13, s13, v13
	s_delay_alu instid0(VALU_DEP_1) | instskip(SKIP_1) | instid1(VALU_DEP_1)
	v_mul_u64_e32 v[10:11], 24, v[12:13]
	s_wait_loadcnt 0x0
	v_add_nc_u64_e32 v[10:11], v[6:7], v[10:11]
	s_wait_xcnt 0x0
	s_and_saveexec_b32 s14, s2
	s_cbranch_execz .LBB1_169
; %bb.168:
	v_mov_b32_e32 v4, s3
	v_mov_b64_e32 v[16:17], 0x100000002
	s_delay_alu instid0(VALU_DEP_2)
	v_mov_b64_e32 v[14:15], v[4:5]
	global_store_b128 v[10:11], v[14:17], off offset:8
.LBB1_169:
	s_wait_xcnt 0x0
	s_or_b32 exec_lo, exec_lo, s14
	v_lshlrev_b64_e32 v[12:13], 12, v[12:13]
	s_mov_b32 s16, 0
	v_and_or_b32 v2, 0xffffff1d, v2, 34
	s_mov_b32 s17, s16
	s_mov_b32 s18, s16
	;; [unrolled: 1-line block ×3, first 2 shown]
	v_mov_b32_e32 v4, s6
	v_add_nc_u64_e32 v[8:9], v[8:9], v[12:13]
	v_mov_b64_e32 v[12:13], s[16:17]
	v_mov_b64_e32 v[14:15], s[18:19]
	s_delay_alu instid0(VALU_DEP_3) | instskip(NEXT) | instid1(VALU_DEP_4)
	v_readfirstlane_b32 s14, v8
	v_readfirstlane_b32 s15, v9
	s_clause 0x3
	global_store_b128 v0, v[2:5], s[14:15]
	global_store_b128 v0, v[12:15], s[14:15] offset:16
	global_store_b128 v0, v[12:15], s[14:15] offset:32
	;; [unrolled: 1-line block ×3, first 2 shown]
	s_wait_xcnt 0x0
	s_and_saveexec_b32 s3, s2
	s_cbranch_execz .LBB1_177
; %bb.170:
	v_dual_mov_b32 v8, 0 :: v_dual_mov_b32 v13, s13
	s_mov_b32 s14, exec_lo
	s_clause 0x1
	global_load_b64 v[14:15], v8, s[10:11] offset:32 scope:SCOPE_SYS
	global_load_b64 v[0:1], v8, s[10:11] offset:40
	s_wait_loadcnt 0x0
	v_dual_mov_b32 v12, s12 :: v_dual_bitop2_b32 v1, s13, v1 bitop3:0x40
	v_and_b32_e32 v0, s12, v0
	s_delay_alu instid0(VALU_DEP_1) | instskip(NEXT) | instid1(VALU_DEP_1)
	v_mul_u64_e32 v[0:1], 24, v[0:1]
	v_add_nc_u64_e32 v[4:5], v[6:7], v[0:1]
	global_store_b64 v[4:5], v[14:15], off
	global_wb scope:SCOPE_SYS
	s_wait_storecnt 0x0
	s_wait_xcnt 0x0
	global_atomic_cmpswap_b64 v[2:3], v8, v[12:15], s[10:11] offset:32 th:TH_ATOMIC_RETURN scope:SCOPE_SYS
	s_wait_loadcnt 0x0
	v_cmpx_ne_u64_e64 v[2:3], v[14:15]
	s_cbranch_execz .LBB1_173
; %bb.171:
	s_mov_b32 s15, 0
.LBB1_172:                              ; =>This Inner Loop Header: Depth=1
	v_dual_mov_b32 v0, s12 :: v_dual_mov_b32 v1, s13
	s_sleep 1
	global_store_b64 v[4:5], v[2:3], off
	global_wb scope:SCOPE_SYS
	s_wait_storecnt 0x0
	s_wait_xcnt 0x0
	global_atomic_cmpswap_b64 v[0:1], v8, v[0:3], s[10:11] offset:32 th:TH_ATOMIC_RETURN scope:SCOPE_SYS
	s_wait_loadcnt 0x0
	v_cmp_eq_u64_e32 vcc_lo, v[0:1], v[2:3]
	v_mov_b64_e32 v[2:3], v[0:1]
	s_or_b32 s15, vcc_lo, s15
	s_delay_alu instid0(SALU_CYCLE_1)
	s_and_not1_b32 exec_lo, exec_lo, s15
	s_cbranch_execnz .LBB1_172
.LBB1_173:
	s_or_b32 exec_lo, exec_lo, s14
	v_mov_b32_e32 v3, 0
	s_mov_b32 s15, exec_lo
	s_mov_b32 s14, exec_lo
	v_mbcnt_lo_u32_b32 v2, s15, 0
	global_load_b64 v[0:1], v3, s[10:11] offset:16
	s_wait_xcnt 0x0
	v_cmpx_eq_u32_e32 0, v2
	s_cbranch_execz .LBB1_175
; %bb.174:
	s_bcnt1_i32_b32 s15, s15
	s_delay_alu instid0(SALU_CYCLE_1)
	v_mov_b32_e32 v2, s15
	global_wb scope:SCOPE_SYS
	s_wait_loadcnt 0x0
	s_wait_storecnt 0x0
	global_atomic_add_u64 v[0:1], v[2:3], off offset:8 scope:SCOPE_SYS
.LBB1_175:
	s_wait_xcnt 0x0
	s_or_b32 exec_lo, exec_lo, s14
	s_wait_loadcnt 0x0
	global_load_b64 v[2:3], v[0:1], off offset:16
	s_wait_loadcnt 0x0
	v_cmp_eq_u64_e32 vcc_lo, 0, v[2:3]
	s_cbranch_vccnz .LBB1_177
; %bb.176:
	global_load_b32 v0, v[0:1], off offset:24
	s_wait_xcnt 0x0
	v_mov_b32_e32 v1, 0
	s_wait_loadcnt 0x0
	v_readfirstlane_b32 s14, v0
	global_wb scope:SCOPE_SYS
	s_wait_storecnt 0x0
	global_store_b64 v[2:3], v[0:1], off scope:SCOPE_SYS
	s_and_b32 m0, s14, 0xffffff
	s_sendmsg sendmsg(MSG_INTERRUPT)
.LBB1_177:
	s_wait_xcnt 0x0
	s_or_b32 exec_lo, exec_lo, s3
	s_branch .LBB1_181
.LBB1_178:                              ;   in Loop: Header=BB1_181 Depth=1
	s_wait_xcnt 0x0
	s_or_b32 exec_lo, exec_lo, s3
	s_delay_alu instid0(VALU_DEP_1)
	v_readfirstlane_b32 s3, v0
	s_cmp_eq_u32 s3, 0
	s_cbranch_scc1 .LBB1_180
; %bb.179:                              ;   in Loop: Header=BB1_181 Depth=1
	s_sleep 1
	s_cbranch_execnz .LBB1_181
	s_branch .LBB1_183
.LBB1_180:
	s_branch .LBB1_183
.LBB1_181:                              ; =>This Inner Loop Header: Depth=1
	v_mov_b32_e32 v0, 1
	s_and_saveexec_b32 s3, s2
	s_cbranch_execz .LBB1_178
; %bb.182:                              ;   in Loop: Header=BB1_181 Depth=1
	global_load_b32 v0, v[10:11], off offset:20 scope:SCOPE_SYS
	s_wait_loadcnt 0x0
	global_inv scope:SCOPE_SYS
	v_and_b32_e32 v0, 1, v0
	s_branch .LBB1_178
.LBB1_183:
	s_and_b32 exec_lo, exec_lo, s2
	s_cbranch_execz .LBB1_187
; %bb.184:
	v_mov_b32_e32 v6, 0
	s_clause 0x2
	global_load_b64 v[0:1], v6, s[10:11] offset:40
	global_load_b64 v[10:11], v6, s[10:11] offset:24 scope:SCOPE_SYS
	global_load_b64 v[2:3], v6, s[10:11]
	s_wait_loadcnt 0x2
	v_readfirstlane_b32 s14, v0
	v_readfirstlane_b32 s15, v1
	s_add_nc_u64 s[2:3], s[14:15], 1
	s_delay_alu instid0(SALU_CYCLE_1) | instskip(NEXT) | instid1(SALU_CYCLE_1)
	s_add_nc_u64 s[12:13], s[2:3], s[12:13]
	s_cmp_eq_u64 s[12:13], 0
	s_cselect_b32 s3, s3, s13
	s_cselect_b32 s2, s2, s12
	v_mov_b32_e32 v9, s3
	s_and_b64 s[12:13], s[2:3], s[14:15]
	v_mov_b32_e32 v8, s2
	s_mul_u64 s[12:13], s[12:13], 24
	s_wait_loadcnt 0x0
	v_add_nc_u64_e32 v[4:5], s[12:13], v[2:3]
	global_store_b64 v[4:5], v[10:11], off
	global_wb scope:SCOPE_SYS
	s_wait_storecnt 0x0
	s_wait_xcnt 0x0
	global_atomic_cmpswap_b64 v[2:3], v6, v[8:11], s[10:11] offset:24 th:TH_ATOMIC_RETURN scope:SCOPE_SYS
	s_wait_loadcnt 0x0
	v_cmp_ne_u64_e32 vcc_lo, v[2:3], v[10:11]
	s_and_b32 exec_lo, exec_lo, vcc_lo
	s_cbranch_execz .LBB1_187
; %bb.185:
	s_mov_b32 s12, 0
.LBB1_186:                              ; =>This Inner Loop Header: Depth=1
	v_dual_mov_b32 v0, s2 :: v_dual_mov_b32 v1, s3
	s_sleep 1
	global_store_b64 v[4:5], v[2:3], off
	global_wb scope:SCOPE_SYS
	s_wait_storecnt 0x0
	s_wait_xcnt 0x0
	global_atomic_cmpswap_b64 v[0:1], v6, v[0:3], s[10:11] offset:24 th:TH_ATOMIC_RETURN scope:SCOPE_SYS
	s_wait_loadcnt 0x0
	v_cmp_eq_u64_e32 vcc_lo, v[0:1], v[2:3]
	v_mov_b64_e32 v[2:3], v[0:1]
	s_or_b32 s12, vcc_lo, s12
	s_delay_alu instid0(SALU_CYCLE_1)
	s_and_not1_b32 exec_lo, exec_lo, s12
	s_cbranch_execnz .LBB1_186
.LBB1_187:
	s_or_b32 exec_lo, exec_lo, s7
	v_dual_mov_b32 v2, 0 :: v_dual_mov_b32 v36, 0
	s_bcnt1_i32_b32 s2, s6
	global_wb scope:SCOPE_DEV
	s_wait_loadcnt 0x0
	s_wait_storecnt 0x0
	global_inv scope:SCOPE_DEV
	s_cmp_lg_u32 s2, 1
	s_cbranch_scc1 .LBB1_222
; %bb.188:
	s_ctz_i32_b32 s2, s6
	s_bitcmp1_b32 s4, 0
	v_lshrrev_b32_e32 v0, s2, v29
	s_cselect_b32 s2, -1, 0
	s_delay_alu instid0(VALU_DEP_1) | instskip(NEXT) | instid1(VALU_DEP_1)
	v_mul_lo_u32 v0, v0, s6
	v_cmp_gt_i32_e32 vcc_lo, 1, v0
	v_subrev_co_ci_u32_e64 v2, null, 0, v0, s2
	s_and_b32 s2, s2, vcc_lo
	s_bitcmp0_b64 s[4:5], 1
	v_cndmask_b32_e64 v0, 0, 1, s2
	s_cbranch_scc1 .LBB1_190
; %bb.189:
	v_cmp_gt_i32_e32 vcc_lo, 1, v2
	s_delay_alu instid0(VALU_DEP_2) | instskip(SKIP_2) | instid1(SALU_CYCLE_1)
	v_cmp_gt_u32_e64 s2, s6, v0
	v_add_nc_u32_e32 v2, -1, v2
	s_and_b32 vcc_lo, vcc_lo, s2
	v_cndmask_b32_e64 v1, 0, 2, vcc_lo
	v_add_co_ci_u32_e64 v3, null, 0, v0, vcc_lo
	s_delay_alu instid0(VALU_DEP_2) | instskip(NEXT) | instid1(VALU_DEP_1)
	v_or_b32_e32 v4, v1, v0
	v_mov_b64_e32 v[0:1], v[4:5]
	s_bitcmp0_b64 s[4:5], 2
	s_cbranch_scc0 .LBB1_191
	s_branch .LBB1_192
.LBB1_190:
	s_delay_alu instid0(VALU_DEP_1)
	v_mov_b32_e32 v3, v0
	s_bitcmp0_b64 s[4:5], 2
	s_cbranch_scc1 .LBB1_192
.LBB1_191:
	v_cmp_gt_i32_e32 vcc_lo, 1, v2
	s_delay_alu instid0(VALU_DEP_2) | instskip(SKIP_2) | instid1(SALU_CYCLE_1)
	v_cmp_gt_u32_e64 s2, s6, v3
	v_add_nc_u32_e32 v2, -1, v2
	s_and_b32 vcc_lo, vcc_lo, s2
	v_cndmask_b32_e64 v1, 0, 4, vcc_lo
	v_add_co_ci_u32_e64 v3, null, 0, v3, vcc_lo
	s_delay_alu instid0(VALU_DEP_2)
	v_or_b32_e32 v0, v1, v0
.LBB1_192:
	s_bitcmp0_b64 s[4:5], 3
	s_cbranch_scc0 .LBB1_338
; %bb.193:
	s_bitcmp0_b64 s[4:5], 4
	s_cbranch_scc0 .LBB1_339
.LBB1_194:
	s_bitcmp0_b64 s[4:5], 5
	s_cbranch_scc0 .LBB1_340
.LBB1_195:
	s_bitcmp0_b64 s[4:5], 6
	s_cbranch_scc0 .LBB1_341
.LBB1_196:
	s_bitcmp0_b64 s[4:5], 7
	s_cbranch_scc0 .LBB1_342
.LBB1_197:
	s_bitcmp0_b64 s[4:5], 8
	s_cbranch_scc0 .LBB1_343
.LBB1_198:
	s_bitcmp0_b64 s[4:5], 9
	s_cbranch_scc0 .LBB1_344
.LBB1_199:
	s_bitcmp0_b64 s[4:5], 10
	s_cbranch_scc0 .LBB1_345
.LBB1_200:
	s_bitcmp0_b64 s[4:5], 11
	s_cbranch_scc0 .LBB1_346
.LBB1_201:
	s_bitcmp0_b64 s[4:5], 12
	s_cbranch_scc0 .LBB1_347
.LBB1_202:
	s_bitcmp0_b64 s[4:5], 13
	s_cbranch_scc0 .LBB1_348
.LBB1_203:
	s_bitcmp0_b64 s[4:5], 14
	s_cbranch_scc0 .LBB1_349
.LBB1_204:
	s_bitcmp0_b64 s[4:5], 15
	s_cbranch_scc0 .LBB1_350
.LBB1_205:
	s_bitcmp0_b64 s[4:5], 16
	s_cbranch_scc0 .LBB1_351
.LBB1_206:
	s_bitcmp0_b64 s[4:5], 17
	s_cbranch_scc0 .LBB1_352
.LBB1_207:
	s_bitcmp0_b64 s[4:5], 18
	s_cbranch_scc0 .LBB1_353
.LBB1_208:
	s_bitcmp0_b64 s[4:5], 19
	s_cbranch_scc0 .LBB1_354
.LBB1_209:
	s_bitcmp0_b64 s[4:5], 20
	s_cbranch_scc0 .LBB1_355
.LBB1_210:
	s_bitcmp0_b64 s[4:5], 21
	s_cbranch_scc0 .LBB1_356
.LBB1_211:
	s_bitcmp0_b64 s[4:5], 22
	s_cbranch_scc0 .LBB1_357
.LBB1_212:
	s_bitcmp0_b64 s[4:5], 23
	s_cbranch_scc0 .LBB1_358
.LBB1_213:
	s_bitcmp0_b64 s[4:5], 24
	s_cbranch_scc0 .LBB1_359
.LBB1_214:
	s_bitcmp0_b64 s[4:5], 25
	s_cbranch_scc0 .LBB1_360
.LBB1_215:
	s_bitcmp0_b64 s[4:5], 26
	s_cbranch_scc0 .LBB1_361
.LBB1_216:
	s_bitcmp0_b64 s[4:5], 27
	s_cbranch_scc0 .LBB1_362
.LBB1_217:
	s_bitcmp0_b64 s[4:5], 28
	s_cbranch_scc0 .LBB1_363
.LBB1_218:
	s_bitcmp0_b64 s[4:5], 29
	s_cbranch_scc0 .LBB1_364
.LBB1_219:
	s_bitcmp0_b64 s[4:5], 30
	s_cbranch_scc1 .LBB1_221
.LBB1_220:
	v_cmp_gt_i32_e32 vcc_lo, 1, v2
	v_cmp_gt_u32_e64 s2, s6, v3
	v_add_nc_u32_e32 v2, -1, v2
	s_and_b32 vcc_lo, vcc_lo, s2
	s_delay_alu instid0(SALU_CYCLE_1) | instskip(SKIP_1) | instid1(VALU_DEP_2)
	v_cndmask_b32_e64 v1, 0, 2.0, vcc_lo
	v_add_co_ci_u32_e64 v3, null, 0, v3, vcc_lo
	v_or_b32_e32 v0, v1, v0
.LBB1_221:
	v_cmp_gt_i32_e32 vcc_lo, 1, v2
	s_cmp_lt_i32 s4, 0
	s_delay_alu instid0(VALU_DEP_3) | instskip(SKIP_1) | instid1(SALU_CYCLE_1)
	v_cmp_gt_u32_e64 s2, s6, v3
	s_cselect_b32 s3, -1, 0
	s_and_b32 s3, vcc_lo, s3
	s_delay_alu instid0(SALU_CYCLE_1) | instskip(NEXT) | instid1(SALU_CYCLE_1)
	s_and_b32 s2, s3, s2
	v_cndmask_b32_e64 v1, 0, 0x80000000, s2
	s_delay_alu instid0(VALU_DEP_1) | instskip(NEXT) | instid1(VALU_DEP_1)
	v_or_b32_e32 v2, v1, v0
	v_bcnt_u32_b32 v36, v2, 0
.LBB1_222:
	v_mbcnt_lo_u32_b32 v0, v2, 0
	s_mov_b32 s10, 0
	s_mov_b32 s7, exec_lo
	s_delay_alu instid0(VALU_DEP_1)
	v_mov_b32_e32 v35, v0
	v_cmpx_lt_u32_e32 1, v36
	s_cbranch_execz .LBB1_232
; %bb.223:
	v_mbcnt_lo_u32_b32 v1, -1, 0
	v_mov_b32_e32 v35, v0
	v_cmp_ne_u32_e32 vcc_lo, 32, v36
	v_mov_b32_e32 v7, v36
	s_delay_alu instid0(VALU_DEP_4) | instskip(NEXT) | instid1(VALU_DEP_1)
	v_lshlrev_b32_e64 v3, v1, -1
	v_and_b32_e32 v6, v3, v2
	v_bitop3_b32 v2, v3, 0xffff, v2 bitop3:0x80
	v_sub_nc_u32_e32 v3, 32, v1
	s_delay_alu instid0(VALU_DEP_3) | instskip(NEXT) | instid1(VALU_DEP_3)
	v_bcnt_u32_b32 v4, v6, 0
	v_bcnt_u32_b32 v5, v2, 0
	v_lshrrev_b32_e32 v6, 16, v6
	s_branch .LBB1_225
.LBB1_224:                              ;   in Loop: Header=BB1_225 Depth=1
	s_or_b32 exec_lo, exec_lo, s3
	v_cmp_gt_u32_e64 s2, 4, v7
	s_wait_dscnt 0x0
	v_dual_add_nc_u32 v35, v9, v35 :: v_dual_mov_b32 v7, v8
	s_or_b32 s10, s2, s10
	s_delay_alu instid0(SALU_CYCLE_1)
	s_and_not1_b32 exec_lo, exec_lo, s10
	s_cbranch_execz .LBB1_231
.LBB1_225:                              ; =>This Inner Loop Header: Depth=1
	s_delay_alu instid0(VALU_DEP_1) | instskip(SKIP_1) | instid1(SALU_CYCLE_1)
	v_lshrrev_b32_e32 v8, 1, v7
                                        ; implicit-def: $vgpr9
	s_and_saveexec_b32 s2, vcc_lo
	s_xor_b32 s11, exec_lo, s2
	s_cbranch_execz .LBB1_229
; %bb.226:                              ;   in Loop: Header=BB1_225 Depth=1
	v_mov_b32_e32 v9, -1
	s_mov_b32 s12, exec_lo
	v_cmpx_gt_u32_e64 v4, v8
	s_cbranch_execz .LBB1_228
; %bb.227:                              ;   in Loop: Header=BB1_225 Depth=1
	v_cmp_gt_u32_e64 s2, v5, v8
	s_delay_alu instid0(VALU_DEP_1) | instskip(SKIP_1) | instid1(VALU_DEP_2)
	v_cndmask_b32_e64 v9, v6, v2, s2
	v_cndmask_b32_e64 v10, v5, 0, s2
	v_and_b32_e32 v11, 0xff, v9
	s_delay_alu instid0(VALU_DEP_2) | instskip(NEXT) | instid1(VALU_DEP_2)
	v_dual_sub_nc_u32 v10, v8, v10 :: v_dual_lshrrev_b32 v9, 8, v9
	v_bcnt_u32_b32 v12, v11, 0
	s_delay_alu instid0(VALU_DEP_2) | instskip(NEXT) | instid1(VALU_DEP_1)
	v_add_nc_u32_e32 v10, 1, v10
	v_cmp_lt_i32_e64 s3, v12, v10
	s_delay_alu instid0(VALU_DEP_1) | instskip(SKIP_1) | instid1(VALU_DEP_2)
	v_dual_cndmask_b32 v9, v11, v9, s3 :: v_dual_cndmask_b32 v11, 0, v12, s3
	v_cndmask_b32_e64 v13, 0, 8, s3
	v_dual_sub_nc_u32 v10, v10, v11 :: v_dual_bitop2_b32 v12, 15, v9 bitop3:0x40
	s_delay_alu instid0(VALU_DEP_1) | instskip(NEXT) | instid1(VALU_DEP_1)
	v_bcnt_u32_b32 v11, v12, 0
	v_cmp_lt_i32_e64 s4, v11, v10
	s_delay_alu instid0(VALU_DEP_1) | instskip(NEXT) | instid1(VALU_DEP_1)
	v_dual_lshrrev_b32 v9, 4, v9 :: v_dual_cndmask_b32 v11, 0, v11, s4
	v_cndmask_b32_e64 v9, v12, v9, s4
	v_cndmask_b32_e64 v14, 0, 4, s4
	s_delay_alu instid0(VALU_DEP_2) | instskip(NEXT) | instid1(VALU_DEP_1)
	v_dual_sub_nc_u32 v10, v10, v11 :: v_dual_bitop2_b32 v12, 3, v9 bitop3:0x40
	v_bcnt_u32_b32 v11, v12, 0
	v_lshrrev_b32_e32 v12, 2, v9
	s_delay_alu instid0(VALU_DEP_2) | instskip(NEXT) | instid1(VALU_DEP_1)
	v_cmp_lt_i32_e64 s5, v11, v10
	v_dual_cndmask_b32 v11, 0, v11, s5 :: v_dual_cndmask_b32 v9, v9, v12, s5
	v_cndmask_b32_e64 v12, 16, 0, s2
	s_delay_alu instid0(VALU_DEP_2) | instskip(NEXT) | instid1(VALU_DEP_2)
	v_dual_sub_nc_u32 v10, v10, v11 :: v_dual_bitop2_b32 v9, 1, v9 bitop3:0x40
	v_or3_b32 v11, v13, v12, v14
	v_cndmask_b32_e64 v12, 0, 2, s5
	s_delay_alu instid0(VALU_DEP_3) | instskip(NEXT) | instid1(VALU_DEP_1)
	v_cmp_lt_i32_e64 s2, v9, v10
	v_cndmask_b32_e64 v9, 0, 1, s2
	s_delay_alu instid0(VALU_DEP_1)
	v_or3_b32 v9, v11, v12, v9
.LBB1_228:                              ;   in Loop: Header=BB1_225 Depth=1
	s_or_b32 exec_lo, exec_lo, s12
	s_delay_alu instid0(VALU_DEP_1) | instskip(NEXT) | instid1(VALU_DEP_1)
	v_cmp_eq_u32_e64 s2, -1, v9
	v_cndmask_b32_e64 v9, v9, v1, s2
	s_delay_alu instid0(VALU_DEP_1) | instskip(NEXT) | instid1(VALU_DEP_1)
	v_and_b32_e32 v9, 31, v9
	v_lshlrev_b32_e32 v9, 2, v9
	ds_bpermute_b32 v9, v9, v35
.LBB1_229:                              ;   in Loop: Header=BB1_225 Depth=1
	s_and_not1_saveexec_b32 s3, s11
	s_cbranch_execz .LBB1_224
; %bb.230:                              ;   in Loop: Header=BB1_225 Depth=1
	v_cmp_lt_u32_e64 s2, v8, v3
	s_wait_dscnt 0x0
	s_delay_alu instid0(VALU_DEP_1) | instskip(NEXT) | instid1(VALU_DEP_1)
	v_cndmask_b32_e64 v9, 0, v8, s2
	v_add_lshl_u32 v9, v9, v1, 2
	ds_bpermute_b32 v9, v9, v35
	s_branch .LBB1_224
.LBB1_231:
	s_or_b32 exec_lo, exec_lo, s10
.LBB1_232:
	s_delay_alu instid0(SALU_CYCLE_1)
	s_or_b32 exec_lo, exec_lo, s7
	v_cmp_eq_u32_e64 s2, 0, v0
	s_and_b32 exec_lo, exec_lo, s2
	s_cbranch_execz .LBB1_472
; %bb.233:
	s_load_b64 s[4:5], s[8:9], 0x50
	v_mbcnt_lo_u32_b32 v34, -1, 0
	v_mov_b64_e32 v[2:3], 0
	s_delay_alu instid0(VALU_DEP_2) | instskip(NEXT) | instid1(VALU_DEP_1)
	v_readfirstlane_b32 s3, v34
	v_cmp_eq_u32_e64 s3, s3, v34
	s_and_saveexec_b32 s7, s3
	s_cbranch_execz .LBB1_239
; %bb.234:
	v_mov_b32_e32 v0, 0
	s_wait_xcnt 0x0
	s_mov_b32 s8, exec_lo
	s_wait_kmcnt 0x0
	global_load_b64 v[4:5], v0, s[4:5] offset:24 scope:SCOPE_SYS
	s_wait_loadcnt 0x0
	global_inv scope:SCOPE_SYS
	s_clause 0x1
	global_load_b64 v[2:3], v0, s[4:5] offset:40
	global_load_b64 v[6:7], v0, s[4:5]
	s_wait_loadcnt 0x1
	v_and_b32_e32 v2, v2, v4
	v_and_b32_e32 v3, v3, v5
	s_delay_alu instid0(VALU_DEP_1) | instskip(SKIP_1) | instid1(VALU_DEP_1)
	v_mul_u64_e32 v[2:3], 24, v[2:3]
	s_wait_loadcnt 0x0
	v_add_nc_u64_e32 v[2:3], v[6:7], v[2:3]
	global_load_b64 v[2:3], v[2:3], off scope:SCOPE_SYS
	s_wait_xcnt 0x0
	s_wait_loadcnt 0x0
	global_atomic_cmpswap_b64 v[2:3], v0, v[2:5], s[4:5] offset:24 th:TH_ATOMIC_RETURN scope:SCOPE_SYS
	s_wait_loadcnt 0x0
	global_inv scope:SCOPE_SYS
	s_wait_xcnt 0x0
	v_cmpx_ne_u64_e64 v[2:3], v[4:5]
	s_cbranch_execz .LBB1_238
; %bb.235:
	s_mov_b32 s9, 0
.LBB1_236:                              ; =>This Inner Loop Header: Depth=1
	s_sleep 1
	s_clause 0x1
	global_load_b64 v[6:7], v0, s[4:5] offset:40
	global_load_b64 v[8:9], v0, s[4:5]
	v_mov_b64_e32 v[4:5], v[2:3]
	s_wait_loadcnt 0x1
	s_delay_alu instid0(VALU_DEP_1) | instskip(SKIP_1) | instid1(VALU_DEP_1)
	v_and_b32_e32 v1, v6, v4
	s_wait_loadcnt 0x0
	v_mad_nc_u64_u32 v[2:3], v1, 24, v[8:9]
	s_delay_alu instid0(VALU_DEP_3) | instskip(NEXT) | instid1(VALU_DEP_1)
	v_and_b32_e32 v1, v7, v5
	v_mad_u32 v3, v1, 24, v3
	global_load_b64 v[2:3], v[2:3], off scope:SCOPE_SYS
	s_wait_xcnt 0x0
	s_wait_loadcnt 0x0
	global_atomic_cmpswap_b64 v[2:3], v0, v[2:5], s[4:5] offset:24 th:TH_ATOMIC_RETURN scope:SCOPE_SYS
	s_wait_loadcnt 0x0
	global_inv scope:SCOPE_SYS
	v_cmp_eq_u64_e32 vcc_lo, v[2:3], v[4:5]
	s_or_b32 s9, vcc_lo, s9
	s_wait_xcnt 0x0
	s_and_not1_b32 exec_lo, exec_lo, s9
	s_cbranch_execnz .LBB1_236
; %bb.237:
	s_or_b32 exec_lo, exec_lo, s9
.LBB1_238:
	s_delay_alu instid0(SALU_CYCLE_1)
	s_or_b32 exec_lo, exec_lo, s8
.LBB1_239:
	s_delay_alu instid0(SALU_CYCLE_1)
	s_or_b32 exec_lo, exec_lo, s7
	s_wait_xcnt 0x0
	v_readfirstlane_b32 s8, v2
	v_mov_b32_e32 v1, 0
	v_readfirstlane_b32 s9, v3
	s_mov_b32 s7, exec_lo
	s_wait_kmcnt 0x0
	s_clause 0x1
	global_load_b64 v[8:9], v1, s[4:5] offset:40
	global_load_b128 v[4:7], v1, s[4:5]
	s_wait_loadcnt 0x1
	v_and_b32_e32 v10, s8, v8
	v_and_b32_e32 v11, s9, v9
	s_delay_alu instid0(VALU_DEP_1) | instskip(SKIP_1) | instid1(VALU_DEP_1)
	v_mul_u64_e32 v[2:3], 24, v[10:11]
	s_wait_loadcnt 0x0
	v_add_nc_u64_e32 v[8:9], v[4:5], v[2:3]
	s_and_saveexec_b32 s10, s3
	s_cbranch_execz .LBB1_241
; %bb.240:
	v_mov_b64_e32 v[2:3], 0x100000002
	v_mov_b32_e32 v0, s7
	global_store_b128 v[8:9], v[0:3], off offset:8
.LBB1_241:
	s_wait_xcnt 0x0
	s_or_b32 exec_lo, exec_lo, s10
	v_lshlrev_b64_e32 v[2:3], 12, v[10:11]
	s_mov_b32 s12, 0
	v_dual_lshlrev_b32 v0, 6, v34 :: v_dual_mov_b32 v10, 33
	s_mov_b32 s14, s12
	s_mov_b32 s15, s12
	;; [unrolled: 1-line block ×3, first 2 shown]
	s_delay_alu instid0(VALU_DEP_2)
	v_add_nc_u64_e32 v[6:7], v[6:7], v[2:3]
	v_mov_b64_e32 v[16:17], s[14:15]
	v_mov_b64_e32 v[14:15], s[12:13]
	v_dual_mov_b32 v11, v1 :: v_dual_mov_b32 v12, v1
	v_mov_b32_e32 v13, v1
	v_readfirstlane_b32 s10, v6
	v_readfirstlane_b32 s11, v7
	s_clause 0x3
	global_store_b128 v0, v[10:13], s[10:11]
	global_store_b128 v0, v[14:17], s[10:11] offset:16
	global_store_b128 v0, v[14:17], s[10:11] offset:32
	;; [unrolled: 1-line block ×3, first 2 shown]
	s_wait_xcnt 0x0
	s_and_saveexec_b32 s7, s3
	s_cbranch_execz .LBB1_249
; %bb.242:
	v_dual_mov_b32 v12, 0 :: v_dual_mov_b32 v15, s9
	s_mov_b32 s10, exec_lo
	s_clause 0x1
	global_load_b64 v[16:17], v12, s[4:5] offset:32 scope:SCOPE_SYS
	global_load_b64 v[2:3], v12, s[4:5] offset:40
	s_wait_loadcnt 0x0
	v_dual_mov_b32 v14, s8 :: v_dual_bitop2_b32 v3, s9, v3 bitop3:0x40
	v_and_b32_e32 v2, s8, v2
	s_delay_alu instid0(VALU_DEP_1) | instskip(NEXT) | instid1(VALU_DEP_1)
	v_mul_u64_e32 v[2:3], 24, v[2:3]
	v_add_nc_u64_e32 v[10:11], v[4:5], v[2:3]
	global_store_b64 v[10:11], v[16:17], off
	global_wb scope:SCOPE_SYS
	s_wait_storecnt 0x0
	s_wait_xcnt 0x0
	global_atomic_cmpswap_b64 v[4:5], v12, v[14:17], s[4:5] offset:32 th:TH_ATOMIC_RETURN scope:SCOPE_SYS
	s_wait_loadcnt 0x0
	v_cmpx_ne_u64_e64 v[4:5], v[16:17]
	s_cbranch_execz .LBB1_245
; %bb.243:
	s_mov_b32 s11, 0
.LBB1_244:                              ; =>This Inner Loop Header: Depth=1
	v_dual_mov_b32 v2, s8 :: v_dual_mov_b32 v3, s9
	s_sleep 1
	global_store_b64 v[10:11], v[4:5], off
	global_wb scope:SCOPE_SYS
	s_wait_storecnt 0x0
	s_wait_xcnt 0x0
	global_atomic_cmpswap_b64 v[2:3], v12, v[2:5], s[4:5] offset:32 th:TH_ATOMIC_RETURN scope:SCOPE_SYS
	s_wait_loadcnt 0x0
	v_cmp_eq_u64_e32 vcc_lo, v[2:3], v[4:5]
	v_mov_b64_e32 v[4:5], v[2:3]
	s_or_b32 s11, vcc_lo, s11
	s_delay_alu instid0(SALU_CYCLE_1)
	s_and_not1_b32 exec_lo, exec_lo, s11
	s_cbranch_execnz .LBB1_244
.LBB1_245:
	s_or_b32 exec_lo, exec_lo, s10
	v_mov_b32_e32 v5, 0
	s_mov_b32 s11, exec_lo
	s_mov_b32 s10, exec_lo
	v_mbcnt_lo_u32_b32 v4, s11, 0
	global_load_b64 v[2:3], v5, s[4:5] offset:16
	s_wait_xcnt 0x0
	v_cmpx_eq_u32_e32 0, v4
	s_cbranch_execz .LBB1_247
; %bb.246:
	s_bcnt1_i32_b32 s11, s11
	s_delay_alu instid0(SALU_CYCLE_1)
	v_mov_b32_e32 v4, s11
	global_wb scope:SCOPE_SYS
	s_wait_loadcnt 0x0
	s_wait_storecnt 0x0
	global_atomic_add_u64 v[2:3], v[4:5], off offset:8 scope:SCOPE_SYS
.LBB1_247:
	s_wait_xcnt 0x0
	s_or_b32 exec_lo, exec_lo, s10
	s_wait_loadcnt 0x0
	global_load_b64 v[4:5], v[2:3], off offset:16
	s_wait_loadcnt 0x0
	v_cmp_eq_u64_e32 vcc_lo, 0, v[4:5]
	s_cbranch_vccnz .LBB1_249
; %bb.248:
	global_load_b32 v2, v[2:3], off offset:24
	s_wait_xcnt 0x0
	v_mov_b32_e32 v3, 0
	s_wait_loadcnt 0x0
	v_readfirstlane_b32 s10, v2
	global_wb scope:SCOPE_SYS
	s_wait_storecnt 0x0
	global_store_b64 v[4:5], v[2:3], off scope:SCOPE_SYS
	s_and_b32 m0, s10, 0xffffff
	s_sendmsg sendmsg(MSG_INTERRUPT)
.LBB1_249:
	s_wait_xcnt 0x0
	s_or_b32 exec_lo, exec_lo, s7
	v_add_nc_u64_e32 v[2:3], v[6:7], v[0:1]
	s_branch .LBB1_253
.LBB1_250:                              ;   in Loop: Header=BB1_253 Depth=1
	s_wait_xcnt 0x0
	s_or_b32 exec_lo, exec_lo, s7
	s_delay_alu instid0(VALU_DEP_1)
	v_readfirstlane_b32 s7, v1
	s_cmp_eq_u32 s7, 0
	s_cbranch_scc1 .LBB1_252
; %bb.251:                              ;   in Loop: Header=BB1_253 Depth=1
	s_sleep 1
	s_cbranch_execnz .LBB1_253
	s_branch .LBB1_255
.LBB1_252:
	s_branch .LBB1_255
.LBB1_253:                              ; =>This Inner Loop Header: Depth=1
	v_mov_b32_e32 v1, 1
	s_and_saveexec_b32 s7, s3
	s_cbranch_execz .LBB1_250
; %bb.254:                              ;   in Loop: Header=BB1_253 Depth=1
	global_load_b32 v1, v[8:9], off offset:20 scope:SCOPE_SYS
	s_wait_loadcnt 0x0
	global_inv scope:SCOPE_SYS
	v_and_b32_e32 v1, 1, v1
	s_branch .LBB1_250
.LBB1_255:
	global_load_b64 v[2:3], v[2:3], off
	s_wait_xcnt 0x0
	s_and_saveexec_b32 s7, s3
	s_cbranch_execz .LBB1_259
; %bb.256:
	v_mov_b32_e32 v1, 0
	s_clause 0x2
	global_load_b64 v[4:5], v1, s[4:5] offset:40
	global_load_b64 v[12:13], v1, s[4:5] offset:24 scope:SCOPE_SYS
	global_load_b64 v[6:7], v1, s[4:5]
	s_wait_loadcnt 0x2
	v_readfirstlane_b32 s10, v4
	v_readfirstlane_b32 s11, v5
	s_add_nc_u64 s[12:13], s[10:11], 1
	s_delay_alu instid0(SALU_CYCLE_1) | instskip(NEXT) | instid1(SALU_CYCLE_1)
	s_add_nc_u64 s[8:9], s[12:13], s[8:9]
	s_cmp_eq_u64 s[8:9], 0
	s_cselect_b32 s9, s13, s9
	s_cselect_b32 s8, s12, s8
	v_mov_b32_e32 v11, s9
	s_and_b64 s[10:11], s[8:9], s[10:11]
	v_mov_b32_e32 v10, s8
	s_mul_u64 s[10:11], s[10:11], 24
	s_wait_loadcnt 0x0
	v_add_nc_u64_e32 v[8:9], s[10:11], v[6:7]
	global_store_b64 v[8:9], v[12:13], off
	global_wb scope:SCOPE_SYS
	s_wait_storecnt 0x0
	s_wait_xcnt 0x0
	global_atomic_cmpswap_b64 v[6:7], v1, v[10:13], s[4:5] offset:24 th:TH_ATOMIC_RETURN scope:SCOPE_SYS
	s_wait_loadcnt 0x0
	v_cmp_ne_u64_e32 vcc_lo, v[6:7], v[12:13]
	s_and_b32 exec_lo, exec_lo, vcc_lo
	s_cbranch_execz .LBB1_259
; %bb.257:
	s_mov_b32 s3, 0
.LBB1_258:                              ; =>This Inner Loop Header: Depth=1
	v_dual_mov_b32 v4, s8 :: v_dual_mov_b32 v5, s9
	s_sleep 1
	global_store_b64 v[8:9], v[6:7], off
	global_wb scope:SCOPE_SYS
	s_wait_storecnt 0x0
	s_wait_xcnt 0x0
	global_atomic_cmpswap_b64 v[4:5], v1, v[4:7], s[4:5] offset:24 th:TH_ATOMIC_RETURN scope:SCOPE_SYS
	s_wait_loadcnt 0x0
	v_cmp_eq_u64_e32 vcc_lo, v[4:5], v[6:7]
	v_mov_b64_e32 v[6:7], v[4:5]
	s_or_b32 s3, vcc_lo, s3
	s_delay_alu instid0(SALU_CYCLE_1)
	s_and_not1_b32 exec_lo, exec_lo, s3
	s_cbranch_execnz .LBB1_258
.LBB1_259:
	s_or_b32 exec_lo, exec_lo, s7
	s_get_pc_i64 s[8:9]
	s_add_nc_u64 s[8:9], s[8:9], .str.1@rel64+4
	s_delay_alu instid0(SALU_CYCLE_1)
	s_cmp_lg_u64 s[8:9], 0
	s_cbranch_scc0 .LBB1_365
; %bb.260:
	v_mov_b64_e32 v[10:11], 0x100000002
	s_wait_loadcnt 0x0
	v_dual_mov_b32 v9, 0 :: v_dual_bitop2_b32 v28, 2, v2 bitop3:0x40
	v_dual_mov_b32 v5, v3 :: v_dual_bitop2_b32 v4, -3, v2 bitop3:0x40
	s_mov_b64 s[10:11], 0x5c
	s_branch .LBB1_262
.LBB1_261:                              ;   in Loop: Header=BB1_262 Depth=1
	s_or_b32 exec_lo, exec_lo, s7
	s_sub_nc_u64 s[10:11], s[10:11], s[12:13]
	s_add_nc_u64 s[8:9], s[8:9], s[12:13]
	s_cmp_lg_u64 s[10:11], 0
	s_cbranch_scc0 .LBB1_337
.LBB1_262:                              ; =>This Loop Header: Depth=1
                                        ;     Child Loop BB1_265 Depth 2
                                        ;     Child Loop BB1_272 Depth 2
	;; [unrolled: 1-line block ×11, first 2 shown]
	v_min_u64 v[6:7], s[10:11], 56
	v_cmp_gt_u64_e64 s3, s[10:11], 7
	s_and_b32 vcc_lo, exec_lo, s3
	v_readfirstlane_b32 s12, v6
	v_readfirstlane_b32 s13, v7
	s_cbranch_vccnz .LBB1_267
; %bb.263:                              ;   in Loop: Header=BB1_262 Depth=1
	v_mov_b64_e32 v[6:7], 0
	s_cmp_eq_u64 s[10:11], 0
	s_cbranch_scc1 .LBB1_266
; %bb.264:                              ;   in Loop: Header=BB1_262 Depth=1
	s_mov_b64 s[14:15], 0
	s_mov_b64 s[16:17], 0
.LBB1_265:                              ;   Parent Loop BB1_262 Depth=1
                                        ; =>  This Inner Loop Header: Depth=2
	s_wait_xcnt 0x0
	s_add_nc_u64 s[18:19], s[8:9], s[16:17]
	s_add_nc_u64 s[16:17], s[16:17], 1
	global_load_u8 v1, v9, s[18:19]
	s_cmp_lg_u32 s12, s16
	s_wait_loadcnt 0x0
	v_and_b32_e32 v8, 0xffff, v1
	s_delay_alu instid0(VALU_DEP_1) | instskip(SKIP_1) | instid1(VALU_DEP_1)
	v_lshlrev_b64_e32 v[12:13], s14, v[8:9]
	s_add_nc_u64 s[14:15], s[14:15], 8
	v_or_b32_e32 v6, v12, v6
	s_delay_alu instid0(VALU_DEP_2)
	v_or_b32_e32 v7, v13, v7
	s_cbranch_scc1 .LBB1_265
.LBB1_266:                              ;   in Loop: Header=BB1_262 Depth=1
	s_mov_b64 s[16:17], s[8:9]
	s_mov_b32 s3, 0
	s_cbranch_execz .LBB1_268
	s_branch .LBB1_269
.LBB1_267:                              ;   in Loop: Header=BB1_262 Depth=1
	s_add_nc_u64 s[16:17], s[8:9], 8
                                        ; kill: def $vgpr6_vgpr7 killed $sgpr0_sgpr1 killed $exec
	s_mov_b32 s3, 0
.LBB1_268:                              ;   in Loop: Header=BB1_262 Depth=1
	global_load_b64 v[6:7], v9, s[8:9]
	s_add_co_i32 s3, s12, -8
.LBB1_269:                              ;   in Loop: Header=BB1_262 Depth=1
	s_delay_alu instid0(SALU_CYCLE_1)
	s_cmp_gt_u32 s3, 7
	s_cbranch_scc1 .LBB1_274
; %bb.270:                              ;   in Loop: Header=BB1_262 Depth=1
	v_mov_b64_e32 v[12:13], 0
	s_cmp_eq_u32 s3, 0
	s_cbranch_scc1 .LBB1_273
; %bb.271:                              ;   in Loop: Header=BB1_262 Depth=1
	s_mov_b64 s[14:15], 0
	s_wait_xcnt 0x0
	s_mov_b64 s[18:19], 0
.LBB1_272:                              ;   Parent Loop BB1_262 Depth=1
                                        ; =>  This Inner Loop Header: Depth=2
	s_wait_xcnt 0x0
	s_add_nc_u64 s[20:21], s[16:17], s[18:19]
	s_add_nc_u64 s[18:19], s[18:19], 1
	global_load_u8 v1, v9, s[20:21]
	s_cmp_lg_u32 s3, s18
	s_wait_loadcnt 0x0
	v_and_b32_e32 v8, 0xffff, v1
	s_delay_alu instid0(VALU_DEP_1) | instskip(SKIP_1) | instid1(VALU_DEP_1)
	v_lshlrev_b64_e32 v[14:15], s14, v[8:9]
	s_add_nc_u64 s[14:15], s[14:15], 8
	v_or_b32_e32 v12, v14, v12
	s_delay_alu instid0(VALU_DEP_2)
	v_or_b32_e32 v13, v15, v13
	s_cbranch_scc1 .LBB1_272
.LBB1_273:                              ;   in Loop: Header=BB1_262 Depth=1
	s_mov_b64 s[14:15], s[16:17]
	s_mov_b32 s7, 0
	s_cbranch_execz .LBB1_275
	s_branch .LBB1_276
.LBB1_274:                              ;   in Loop: Header=BB1_262 Depth=1
	s_add_nc_u64 s[14:15], s[16:17], 8
                                        ; implicit-def: $vgpr12_vgpr13
	s_mov_b32 s7, 0
.LBB1_275:                              ;   in Loop: Header=BB1_262 Depth=1
	global_load_b64 v[12:13], v9, s[16:17]
	s_add_co_i32 s7, s3, -8
.LBB1_276:                              ;   in Loop: Header=BB1_262 Depth=1
	s_delay_alu instid0(SALU_CYCLE_1)
	s_cmp_gt_u32 s7, 7
	s_cbranch_scc1 .LBB1_281
; %bb.277:                              ;   in Loop: Header=BB1_262 Depth=1
	v_mov_b64_e32 v[14:15], 0
	s_cmp_eq_u32 s7, 0
	s_cbranch_scc1 .LBB1_280
; %bb.278:                              ;   in Loop: Header=BB1_262 Depth=1
	s_wait_xcnt 0x0
	s_mov_b64 s[16:17], 0
	s_mov_b64 s[18:19], 0
.LBB1_279:                              ;   Parent Loop BB1_262 Depth=1
                                        ; =>  This Inner Loop Header: Depth=2
	s_wait_xcnt 0x0
	s_add_nc_u64 s[20:21], s[14:15], s[18:19]
	s_add_nc_u64 s[18:19], s[18:19], 1
	global_load_u8 v1, v9, s[20:21]
	s_cmp_lg_u32 s7, s18
	s_wait_loadcnt 0x0
	v_and_b32_e32 v8, 0xffff, v1
	s_delay_alu instid0(VALU_DEP_1) | instskip(SKIP_1) | instid1(VALU_DEP_1)
	v_lshlrev_b64_e32 v[16:17], s16, v[8:9]
	s_add_nc_u64 s[16:17], s[16:17], 8
	v_or_b32_e32 v14, v16, v14
	s_delay_alu instid0(VALU_DEP_2)
	v_or_b32_e32 v15, v17, v15
	s_cbranch_scc1 .LBB1_279
.LBB1_280:                              ;   in Loop: Header=BB1_262 Depth=1
	s_wait_xcnt 0x0
	s_mov_b64 s[16:17], s[14:15]
	s_mov_b32 s3, 0
	s_cbranch_execz .LBB1_282
	s_branch .LBB1_283
.LBB1_281:                              ;   in Loop: Header=BB1_262 Depth=1
	s_wait_xcnt 0x0
	s_add_nc_u64 s[16:17], s[14:15], 8
                                        ; kill: def $vgpr14_vgpr15 killed $sgpr0_sgpr1 killed $exec
	s_mov_b32 s3, 0
.LBB1_282:                              ;   in Loop: Header=BB1_262 Depth=1
	global_load_b64 v[14:15], v9, s[14:15]
	s_add_co_i32 s3, s7, -8
.LBB1_283:                              ;   in Loop: Header=BB1_262 Depth=1
	s_delay_alu instid0(SALU_CYCLE_1)
	s_cmp_gt_u32 s3, 7
	s_cbranch_scc1 .LBB1_288
; %bb.284:                              ;   in Loop: Header=BB1_262 Depth=1
	v_mov_b64_e32 v[16:17], 0
	s_cmp_eq_u32 s3, 0
	s_cbranch_scc1 .LBB1_287
; %bb.285:                              ;   in Loop: Header=BB1_262 Depth=1
	s_wait_xcnt 0x0
	s_mov_b64 s[14:15], 0
	s_mov_b64 s[18:19], 0
.LBB1_286:                              ;   Parent Loop BB1_262 Depth=1
                                        ; =>  This Inner Loop Header: Depth=2
	s_wait_xcnt 0x0
	s_add_nc_u64 s[20:21], s[16:17], s[18:19]
	s_add_nc_u64 s[18:19], s[18:19], 1
	global_load_u8 v1, v9, s[20:21]
	s_cmp_lg_u32 s3, s18
	s_wait_loadcnt 0x0
	v_and_b32_e32 v8, 0xffff, v1
	s_delay_alu instid0(VALU_DEP_1) | instskip(SKIP_1) | instid1(VALU_DEP_1)
	v_lshlrev_b64_e32 v[18:19], s14, v[8:9]
	s_add_nc_u64 s[14:15], s[14:15], 8
	v_or_b32_e32 v16, v18, v16
	s_delay_alu instid0(VALU_DEP_2)
	v_or_b32_e32 v17, v19, v17
	s_cbranch_scc1 .LBB1_286
.LBB1_287:                              ;   in Loop: Header=BB1_262 Depth=1
	s_wait_xcnt 0x0
	s_mov_b64 s[14:15], s[16:17]
	s_mov_b32 s7, 0
	s_cbranch_execz .LBB1_289
	s_branch .LBB1_290
.LBB1_288:                              ;   in Loop: Header=BB1_262 Depth=1
	s_wait_xcnt 0x0
	s_add_nc_u64 s[14:15], s[16:17], 8
                                        ; implicit-def: $vgpr16_vgpr17
	s_mov_b32 s7, 0
.LBB1_289:                              ;   in Loop: Header=BB1_262 Depth=1
	global_load_b64 v[16:17], v9, s[16:17]
	s_add_co_i32 s7, s3, -8
.LBB1_290:                              ;   in Loop: Header=BB1_262 Depth=1
	s_delay_alu instid0(SALU_CYCLE_1)
	s_cmp_gt_u32 s7, 7
	s_cbranch_scc1 .LBB1_295
; %bb.291:                              ;   in Loop: Header=BB1_262 Depth=1
	v_mov_b64_e32 v[18:19], 0
	s_cmp_eq_u32 s7, 0
	s_cbranch_scc1 .LBB1_294
; %bb.292:                              ;   in Loop: Header=BB1_262 Depth=1
	s_wait_xcnt 0x0
	s_mov_b64 s[16:17], 0
	s_mov_b64 s[18:19], 0
.LBB1_293:                              ;   Parent Loop BB1_262 Depth=1
                                        ; =>  This Inner Loop Header: Depth=2
	s_wait_xcnt 0x0
	s_add_nc_u64 s[20:21], s[14:15], s[18:19]
	s_add_nc_u64 s[18:19], s[18:19], 1
	global_load_u8 v1, v9, s[20:21]
	s_cmp_lg_u32 s7, s18
	s_wait_loadcnt 0x0
	v_and_b32_e32 v8, 0xffff, v1
	s_delay_alu instid0(VALU_DEP_1) | instskip(SKIP_1) | instid1(VALU_DEP_1)
	v_lshlrev_b64_e32 v[20:21], s16, v[8:9]
	s_add_nc_u64 s[16:17], s[16:17], 8
	v_or_b32_e32 v18, v20, v18
	s_delay_alu instid0(VALU_DEP_2)
	v_or_b32_e32 v19, v21, v19
	s_cbranch_scc1 .LBB1_293
.LBB1_294:                              ;   in Loop: Header=BB1_262 Depth=1
	s_wait_xcnt 0x0
	s_mov_b64 s[16:17], s[14:15]
	s_mov_b32 s3, 0
	s_cbranch_execz .LBB1_296
	s_branch .LBB1_297
.LBB1_295:                              ;   in Loop: Header=BB1_262 Depth=1
	s_wait_xcnt 0x0
	s_add_nc_u64 s[16:17], s[14:15], 8
                                        ; kill: def $vgpr18_vgpr19 killed $sgpr0_sgpr1 killed $exec
	s_mov_b32 s3, 0
.LBB1_296:                              ;   in Loop: Header=BB1_262 Depth=1
	global_load_b64 v[18:19], v9, s[14:15]
	s_add_co_i32 s3, s7, -8
.LBB1_297:                              ;   in Loop: Header=BB1_262 Depth=1
	s_delay_alu instid0(SALU_CYCLE_1)
	s_cmp_gt_u32 s3, 7
	s_cbranch_scc1 .LBB1_302
; %bb.298:                              ;   in Loop: Header=BB1_262 Depth=1
	v_mov_b64_e32 v[20:21], 0
	s_cmp_eq_u32 s3, 0
	s_cbranch_scc1 .LBB1_301
; %bb.299:                              ;   in Loop: Header=BB1_262 Depth=1
	s_wait_xcnt 0x0
	s_mov_b64 s[14:15], 0
	s_mov_b64 s[18:19], 0
.LBB1_300:                              ;   Parent Loop BB1_262 Depth=1
                                        ; =>  This Inner Loop Header: Depth=2
	s_wait_xcnt 0x0
	s_add_nc_u64 s[20:21], s[16:17], s[18:19]
	s_add_nc_u64 s[18:19], s[18:19], 1
	global_load_u8 v1, v9, s[20:21]
	s_cmp_lg_u32 s3, s18
	s_wait_loadcnt 0x0
	v_and_b32_e32 v8, 0xffff, v1
	s_delay_alu instid0(VALU_DEP_1) | instskip(SKIP_1) | instid1(VALU_DEP_1)
	v_lshlrev_b64_e32 v[22:23], s14, v[8:9]
	s_add_nc_u64 s[14:15], s[14:15], 8
	v_or_b32_e32 v20, v22, v20
	s_delay_alu instid0(VALU_DEP_2)
	v_or_b32_e32 v21, v23, v21
	s_cbranch_scc1 .LBB1_300
.LBB1_301:                              ;   in Loop: Header=BB1_262 Depth=1
	s_wait_xcnt 0x0
	s_mov_b64 s[14:15], s[16:17]
	s_mov_b32 s7, 0
	s_cbranch_execz .LBB1_303
	s_branch .LBB1_304
.LBB1_302:                              ;   in Loop: Header=BB1_262 Depth=1
	s_wait_xcnt 0x0
	s_add_nc_u64 s[14:15], s[16:17], 8
                                        ; implicit-def: $vgpr20_vgpr21
	s_mov_b32 s7, 0
.LBB1_303:                              ;   in Loop: Header=BB1_262 Depth=1
	global_load_b64 v[20:21], v9, s[16:17]
	s_add_co_i32 s7, s3, -8
.LBB1_304:                              ;   in Loop: Header=BB1_262 Depth=1
	s_delay_alu instid0(SALU_CYCLE_1)
	s_cmp_gt_u32 s7, 7
	s_cbranch_scc1 .LBB1_309
; %bb.305:                              ;   in Loop: Header=BB1_262 Depth=1
	v_mov_b64_e32 v[22:23], 0
	s_cmp_eq_u32 s7, 0
	s_cbranch_scc1 .LBB1_308
; %bb.306:                              ;   in Loop: Header=BB1_262 Depth=1
	s_wait_xcnt 0x0
	s_mov_b64 s[16:17], 0
	s_mov_b64 s[18:19], s[14:15]
.LBB1_307:                              ;   Parent Loop BB1_262 Depth=1
                                        ; =>  This Inner Loop Header: Depth=2
	global_load_u8 v1, v9, s[18:19]
	s_add_co_i32 s7, s7, -1
	s_wait_xcnt 0x0
	s_add_nc_u64 s[18:19], s[18:19], 1
	s_cmp_lg_u32 s7, 0
	s_wait_loadcnt 0x0
	v_and_b32_e32 v8, 0xffff, v1
	s_delay_alu instid0(VALU_DEP_1) | instskip(SKIP_1) | instid1(VALU_DEP_1)
	v_lshlrev_b64_e32 v[24:25], s16, v[8:9]
	s_add_nc_u64 s[16:17], s[16:17], 8
	v_or_b32_e32 v22, v24, v22
	s_delay_alu instid0(VALU_DEP_2)
	v_or_b32_e32 v23, v25, v23
	s_cbranch_scc1 .LBB1_307
.LBB1_308:                              ;   in Loop: Header=BB1_262 Depth=1
	s_cbranch_execz .LBB1_310
	s_branch .LBB1_311
.LBB1_309:                              ;   in Loop: Header=BB1_262 Depth=1
                                        ; kill: def $vgpr22_vgpr23 killed $sgpr0_sgpr1 killed $exec
.LBB1_310:                              ;   in Loop: Header=BB1_262 Depth=1
	global_load_b64 v[22:23], v9, s[14:15]
.LBB1_311:                              ;   in Loop: Header=BB1_262 Depth=1
	v_readfirstlane_b32 s3, v34
	v_mov_b64_e32 v[30:31], 0
	s_delay_alu instid0(VALU_DEP_2)
	v_cmp_eq_u32_e64 s3, s3, v34
	s_wait_xcnt 0x0
	s_and_saveexec_b32 s7, s3
	s_cbranch_execz .LBB1_317
; %bb.312:                              ;   in Loop: Header=BB1_262 Depth=1
	global_load_b64 v[26:27], v9, s[4:5] offset:24 scope:SCOPE_SYS
	s_wait_loadcnt 0x0
	global_inv scope:SCOPE_SYS
	s_clause 0x1
	global_load_b64 v[24:25], v9, s[4:5] offset:40
	global_load_b64 v[30:31], v9, s[4:5]
	s_mov_b32 s14, exec_lo
	s_wait_loadcnt 0x1
	v_and_b32_e32 v24, v24, v26
	v_and_b32_e32 v25, v25, v27
	s_delay_alu instid0(VALU_DEP_1) | instskip(SKIP_1) | instid1(VALU_DEP_1)
	v_mul_u64_e32 v[24:25], 24, v[24:25]
	s_wait_loadcnt 0x0
	v_add_nc_u64_e32 v[24:25], v[30:31], v[24:25]
	global_load_b64 v[24:25], v[24:25], off scope:SCOPE_SYS
	s_wait_xcnt 0x0
	s_wait_loadcnt 0x0
	global_atomic_cmpswap_b64 v[30:31], v9, v[24:27], s[4:5] offset:24 th:TH_ATOMIC_RETURN scope:SCOPE_SYS
	s_wait_loadcnt 0x0
	global_inv scope:SCOPE_SYS
	s_wait_xcnt 0x0
	v_cmpx_ne_u64_e64 v[30:31], v[26:27]
	s_cbranch_execz .LBB1_316
; %bb.313:                              ;   in Loop: Header=BB1_262 Depth=1
	s_mov_b32 s15, 0
.LBB1_314:                              ;   Parent Loop BB1_262 Depth=1
                                        ; =>  This Inner Loop Header: Depth=2
	s_sleep 1
	s_clause 0x1
	global_load_b64 v[24:25], v9, s[4:5] offset:40
	global_load_b64 v[32:33], v9, s[4:5]
	v_mov_b64_e32 v[26:27], v[30:31]
	s_wait_loadcnt 0x1
	s_delay_alu instid0(VALU_DEP_1) | instskip(SKIP_1) | instid1(VALU_DEP_1)
	v_and_b32_e32 v1, v24, v26
	s_wait_loadcnt 0x0
	v_mad_nc_u64_u32 v[30:31], v1, 24, v[32:33]
	s_delay_alu instid0(VALU_DEP_3) | instskip(NEXT) | instid1(VALU_DEP_1)
	v_and_b32_e32 v1, v25, v27
	v_mad_u32 v31, v1, 24, v31
	global_load_b64 v[24:25], v[30:31], off scope:SCOPE_SYS
	s_wait_xcnt 0x0
	s_wait_loadcnt 0x0
	global_atomic_cmpswap_b64 v[30:31], v9, v[24:27], s[4:5] offset:24 th:TH_ATOMIC_RETURN scope:SCOPE_SYS
	s_wait_loadcnt 0x0
	global_inv scope:SCOPE_SYS
	v_cmp_eq_u64_e32 vcc_lo, v[30:31], v[26:27]
	s_or_b32 s15, vcc_lo, s15
	s_wait_xcnt 0x0
	s_and_not1_b32 exec_lo, exec_lo, s15
	s_cbranch_execnz .LBB1_314
; %bb.315:                              ;   in Loop: Header=BB1_262 Depth=1
	s_or_b32 exec_lo, exec_lo, s15
.LBB1_316:                              ;   in Loop: Header=BB1_262 Depth=1
	s_delay_alu instid0(SALU_CYCLE_1)
	s_or_b32 exec_lo, exec_lo, s14
.LBB1_317:                              ;   in Loop: Header=BB1_262 Depth=1
	s_delay_alu instid0(SALU_CYCLE_1)
	s_or_b32 exec_lo, exec_lo, s7
	s_clause 0x1
	global_load_b64 v[32:33], v9, s[4:5] offset:40
	global_load_b128 v[24:27], v9, s[4:5]
	v_readfirstlane_b32 s14, v30
	v_readfirstlane_b32 s15, v31
	s_mov_b32 s7, exec_lo
	s_wait_loadcnt 0x1
	v_and_b32_e32 v32, s14, v32
	v_and_b32_e32 v33, s15, v33
	s_delay_alu instid0(VALU_DEP_1) | instskip(SKIP_1) | instid1(VALU_DEP_1)
	v_mul_u64_e32 v[30:31], 24, v[32:33]
	s_wait_loadcnt 0x0
	v_add_nc_u64_e32 v[30:31], v[24:25], v[30:31]
	s_wait_xcnt 0x0
	s_and_saveexec_b32 s16, s3
	s_cbranch_execz .LBB1_319
; %bb.318:                              ;   in Loop: Header=BB1_262 Depth=1
	v_mov_b32_e32 v8, s7
	global_store_b128 v[30:31], v[8:11], off offset:8
.LBB1_319:                              ;   in Loop: Header=BB1_262 Depth=1
	s_wait_xcnt 0x0
	s_or_b32 exec_lo, exec_lo, s16
	v_cmp_lt_u64_e64 vcc_lo, s[10:11], 57
	v_lshlrev_b64_e32 v[32:33], 12, v[32:33]
	v_and_b32_e32 v4, 0xffffff1f, v4
	s_lshl_b32 s7, s12, 2
	s_delay_alu instid0(SALU_CYCLE_1) | instskip(SKIP_1) | instid1(VALU_DEP_3)
	s_add_co_i32 s7, s7, 28
	v_cndmask_b32_e32 v1, 0, v28, vcc_lo
	v_add_nc_u64_e32 v[26:27], v[26:27], v[32:33]
	s_delay_alu instid0(VALU_DEP_2) | instskip(NEXT) | instid1(VALU_DEP_2)
	v_or_b32_e32 v1, v4, v1
	v_readfirstlane_b32 s16, v26
	s_delay_alu instid0(VALU_DEP_3) | instskip(NEXT) | instid1(VALU_DEP_3)
	v_readfirstlane_b32 s17, v27
	v_and_or_b32 v4, 0x1e0, s7, v1
	s_clause 0x3
	global_store_b128 v0, v[4:7], s[16:17]
	global_store_b128 v0, v[12:15], s[16:17] offset:16
	global_store_b128 v0, v[16:19], s[16:17] offset:32
	;; [unrolled: 1-line block ×3, first 2 shown]
	s_wait_xcnt 0x0
	s_and_saveexec_b32 s7, s3
	s_cbranch_execz .LBB1_327
; %bb.320:                              ;   in Loop: Header=BB1_262 Depth=1
	s_clause 0x1
	global_load_b64 v[16:17], v9, s[4:5] offset:32 scope:SCOPE_SYS
	global_load_b64 v[4:5], v9, s[4:5] offset:40
	s_mov_b32 s16, exec_lo
	v_dual_mov_b32 v14, s14 :: v_dual_mov_b32 v15, s15
	s_wait_loadcnt 0x0
	v_and_b32_e32 v5, s15, v5
	v_and_b32_e32 v4, s14, v4
	s_delay_alu instid0(VALU_DEP_1) | instskip(NEXT) | instid1(VALU_DEP_1)
	v_mul_u64_e32 v[4:5], 24, v[4:5]
	v_add_nc_u64_e32 v[12:13], v[24:25], v[4:5]
	global_store_b64 v[12:13], v[16:17], off
	global_wb scope:SCOPE_SYS
	s_wait_storecnt 0x0
	s_wait_xcnt 0x0
	global_atomic_cmpswap_b64 v[6:7], v9, v[14:17], s[4:5] offset:32 th:TH_ATOMIC_RETURN scope:SCOPE_SYS
	s_wait_loadcnt 0x0
	v_cmpx_ne_u64_e64 v[6:7], v[16:17]
	s_cbranch_execz .LBB1_323
; %bb.321:                              ;   in Loop: Header=BB1_262 Depth=1
	s_mov_b32 s17, 0
.LBB1_322:                              ;   Parent Loop BB1_262 Depth=1
                                        ; =>  This Inner Loop Header: Depth=2
	v_dual_mov_b32 v4, s14 :: v_dual_mov_b32 v5, s15
	s_sleep 1
	global_store_b64 v[12:13], v[6:7], off
	global_wb scope:SCOPE_SYS
	s_wait_storecnt 0x0
	s_wait_xcnt 0x0
	global_atomic_cmpswap_b64 v[4:5], v9, v[4:7], s[4:5] offset:32 th:TH_ATOMIC_RETURN scope:SCOPE_SYS
	s_wait_loadcnt 0x0
	v_cmp_eq_u64_e32 vcc_lo, v[4:5], v[6:7]
	v_mov_b64_e32 v[6:7], v[4:5]
	s_or_b32 s17, vcc_lo, s17
	s_delay_alu instid0(SALU_CYCLE_1)
	s_and_not1_b32 exec_lo, exec_lo, s17
	s_cbranch_execnz .LBB1_322
.LBB1_323:                              ;   in Loop: Header=BB1_262 Depth=1
	s_or_b32 exec_lo, exec_lo, s16
	global_load_b64 v[4:5], v9, s[4:5] offset:16
	s_mov_b32 s17, exec_lo
	s_mov_b32 s16, exec_lo
	v_mbcnt_lo_u32_b32 v1, s17, 0
	s_wait_xcnt 0x0
	s_delay_alu instid0(VALU_DEP_1)
	v_cmpx_eq_u32_e32 0, v1
	s_cbranch_execz .LBB1_325
; %bb.324:                              ;   in Loop: Header=BB1_262 Depth=1
	s_bcnt1_i32_b32 s17, s17
	s_delay_alu instid0(SALU_CYCLE_1)
	v_mov_b32_e32 v8, s17
	global_wb scope:SCOPE_SYS
	s_wait_loadcnt 0x0
	s_wait_storecnt 0x0
	global_atomic_add_u64 v[4:5], v[8:9], off offset:8 scope:SCOPE_SYS
.LBB1_325:                              ;   in Loop: Header=BB1_262 Depth=1
	s_wait_xcnt 0x0
	s_or_b32 exec_lo, exec_lo, s16
	s_wait_loadcnt 0x0
	global_load_b64 v[6:7], v[4:5], off offset:16
	s_wait_loadcnt 0x0
	v_cmp_eq_u64_e32 vcc_lo, 0, v[6:7]
	s_cbranch_vccnz .LBB1_327
; %bb.326:                              ;   in Loop: Header=BB1_262 Depth=1
	global_load_b32 v8, v[4:5], off offset:24
	s_wait_loadcnt 0x0
	v_readfirstlane_b32 s16, v8
	global_wb scope:SCOPE_SYS
	s_wait_storecnt 0x0
	s_wait_xcnt 0x0
	global_store_b64 v[6:7], v[8:9], off scope:SCOPE_SYS
	s_and_b32 m0, s16, 0xffffff
	s_sendmsg sendmsg(MSG_INTERRUPT)
.LBB1_327:                              ;   in Loop: Header=BB1_262 Depth=1
	s_wait_xcnt 0x0
	s_or_b32 exec_lo, exec_lo, s7
	v_mov_b32_e32 v1, v9
	s_delay_alu instid0(VALU_DEP_1)
	v_add_nc_u64_e32 v[4:5], v[26:27], v[0:1]
	s_branch .LBB1_331
.LBB1_328:                              ;   in Loop: Header=BB1_331 Depth=2
	s_wait_xcnt 0x0
	s_or_b32 exec_lo, exec_lo, s7
	s_delay_alu instid0(VALU_DEP_1)
	v_readfirstlane_b32 s7, v1
	s_cmp_eq_u32 s7, 0
	s_cbranch_scc1 .LBB1_330
; %bb.329:                              ;   in Loop: Header=BB1_331 Depth=2
	s_sleep 1
	s_cbranch_execnz .LBB1_331
	s_branch .LBB1_333
.LBB1_330:                              ;   in Loop: Header=BB1_262 Depth=1
	s_branch .LBB1_333
.LBB1_331:                              ;   Parent Loop BB1_262 Depth=1
                                        ; =>  This Inner Loop Header: Depth=2
	v_mov_b32_e32 v1, 1
	s_and_saveexec_b32 s7, s3
	s_cbranch_execz .LBB1_328
; %bb.332:                              ;   in Loop: Header=BB1_331 Depth=2
	global_load_b32 v1, v[30:31], off offset:20 scope:SCOPE_SYS
	s_wait_loadcnt 0x0
	global_inv scope:SCOPE_SYS
	v_and_b32_e32 v1, 1, v1
	s_branch .LBB1_328
.LBB1_333:                              ;   in Loop: Header=BB1_262 Depth=1
	global_load_b64 v[4:5], v[4:5], off
	s_wait_xcnt 0x0
	s_and_saveexec_b32 s7, s3
	s_cbranch_execz .LBB1_261
; %bb.334:                              ;   in Loop: Header=BB1_262 Depth=1
	s_clause 0x2
	global_load_b64 v[6:7], v9, s[4:5] offset:40
	global_load_b64 v[16:17], v9, s[4:5] offset:24 scope:SCOPE_SYS
	global_load_b64 v[12:13], v9, s[4:5]
	s_wait_loadcnt 0x2
	v_readfirstlane_b32 s16, v6
	v_readfirstlane_b32 s17, v7
	s_add_nc_u64 s[18:19], s[16:17], 1
	s_delay_alu instid0(SALU_CYCLE_1) | instskip(NEXT) | instid1(SALU_CYCLE_1)
	s_add_nc_u64 s[14:15], s[18:19], s[14:15]
	s_cmp_eq_u64 s[14:15], 0
	s_cselect_b32 s15, s19, s15
	s_cselect_b32 s14, s18, s14
	s_delay_alu instid0(SALU_CYCLE_1) | instskip(SKIP_1) | instid1(SALU_CYCLE_1)
	v_dual_mov_b32 v15, s15 :: v_dual_mov_b32 v14, s14
	s_and_b64 s[16:17], s[14:15], s[16:17]
	s_mul_u64 s[16:17], s[16:17], 24
	s_wait_loadcnt 0x0
	v_add_nc_u64_e32 v[6:7], s[16:17], v[12:13]
	global_store_b64 v[6:7], v[16:17], off
	global_wb scope:SCOPE_SYS
	s_wait_storecnt 0x0
	s_wait_xcnt 0x0
	global_atomic_cmpswap_b64 v[14:15], v9, v[14:17], s[4:5] offset:24 th:TH_ATOMIC_RETURN scope:SCOPE_SYS
	s_wait_loadcnt 0x0
	v_cmp_ne_u64_e32 vcc_lo, v[14:15], v[16:17]
	s_and_b32 exec_lo, exec_lo, vcc_lo
	s_cbranch_execz .LBB1_261
; %bb.335:                              ;   in Loop: Header=BB1_262 Depth=1
	s_mov_b32 s3, 0
.LBB1_336:                              ;   Parent Loop BB1_262 Depth=1
                                        ; =>  This Inner Loop Header: Depth=2
	v_dual_mov_b32 v12, s14 :: v_dual_mov_b32 v13, s15
	s_sleep 1
	global_store_b64 v[6:7], v[14:15], off
	global_wb scope:SCOPE_SYS
	s_wait_storecnt 0x0
	s_wait_xcnt 0x0
	global_atomic_cmpswap_b64 v[12:13], v9, v[12:15], s[4:5] offset:24 th:TH_ATOMIC_RETURN scope:SCOPE_SYS
	s_wait_loadcnt 0x0
	v_cmp_eq_u64_e32 vcc_lo, v[12:13], v[14:15]
	v_mov_b64_e32 v[14:15], v[12:13]
	s_or_b32 s3, vcc_lo, s3
	s_delay_alu instid0(SALU_CYCLE_1)
	s_and_not1_b32 exec_lo, exec_lo, s3
	s_cbranch_execnz .LBB1_336
	s_branch .LBB1_261
.LBB1_337:
	s_branch .LBB1_393
.LBB1_338:
	v_cmp_gt_i32_e32 vcc_lo, 1, v2
	v_cmp_gt_u32_e64 s2, s6, v3
	v_add_nc_u32_e32 v2, -1, v2
	s_and_b32 vcc_lo, vcc_lo, s2
	s_delay_alu instid0(SALU_CYCLE_1) | instskip(SKIP_1) | instid1(VALU_DEP_2)
	v_cndmask_b32_e64 v1, 0, 8, vcc_lo
	v_add_co_ci_u32_e64 v3, null, 0, v3, vcc_lo
	v_or_b32_e32 v0, v1, v0
	s_bitcmp0_b64 s[4:5], 4
	s_cbranch_scc1 .LBB1_194
.LBB1_339:
	v_cmp_gt_i32_e32 vcc_lo, 1, v2
	v_cmp_gt_u32_e64 s2, s6, v3
	v_add_nc_u32_e32 v2, -1, v2
	s_and_b32 vcc_lo, vcc_lo, s2
	s_delay_alu instid0(SALU_CYCLE_1) | instskip(SKIP_1) | instid1(VALU_DEP_2)
	v_cndmask_b32_e64 v1, 0, 16, vcc_lo
	v_add_co_ci_u32_e64 v3, null, 0, v3, vcc_lo
	v_or_b32_e32 v0, v1, v0
	s_bitcmp0_b64 s[4:5], 5
	s_cbranch_scc1 .LBB1_195
.LBB1_340:
	v_cmp_gt_i32_e32 vcc_lo, 1, v2
	v_cmp_gt_u32_e64 s2, s6, v3
	v_add_nc_u32_e32 v2, -1, v2
	s_and_b32 vcc_lo, vcc_lo, s2
	s_delay_alu instid0(SALU_CYCLE_1) | instskip(SKIP_1) | instid1(VALU_DEP_2)
	v_cndmask_b32_e64 v1, 0, 32, vcc_lo
	v_add_co_ci_u32_e64 v3, null, 0, v3, vcc_lo
	v_or_b32_e32 v0, v1, v0
	s_bitcmp0_b64 s[4:5], 6
	s_cbranch_scc1 .LBB1_196
.LBB1_341:
	v_cmp_gt_i32_e32 vcc_lo, 1, v2
	v_cmp_gt_u32_e64 s2, s6, v3
	v_add_nc_u32_e32 v2, -1, v2
	s_and_b32 vcc_lo, vcc_lo, s2
	s_delay_alu instid0(SALU_CYCLE_1) | instskip(SKIP_1) | instid1(VALU_DEP_2)
	v_cndmask_b32_e64 v1, 0, 64, vcc_lo
	v_add_co_ci_u32_e64 v3, null, 0, v3, vcc_lo
	v_or_b32_e32 v0, v1, v0
	s_bitcmp0_b64 s[4:5], 7
	s_cbranch_scc1 .LBB1_197
.LBB1_342:
	v_cmp_gt_i32_e32 vcc_lo, 1, v2
	v_cmp_gt_u32_e64 s2, s6, v3
	v_add_nc_u32_e32 v2, -1, v2
	s_and_b32 vcc_lo, vcc_lo, s2
	s_delay_alu instid0(SALU_CYCLE_1) | instskip(SKIP_1) | instid1(VALU_DEP_2)
	v_cndmask_b32_e64 v1, 0, 0x80, vcc_lo
	v_add_co_ci_u32_e64 v3, null, 0, v3, vcc_lo
	v_or_b32_e32 v0, v1, v0
	s_bitcmp0_b64 s[4:5], 8
	s_cbranch_scc1 .LBB1_198
.LBB1_343:
	v_cmp_gt_i32_e32 vcc_lo, 1, v2
	v_cmp_gt_u32_e64 s2, s6, v3
	v_add_nc_u32_e32 v2, -1, v2
	s_and_b32 vcc_lo, vcc_lo, s2
	s_delay_alu instid0(SALU_CYCLE_1) | instskip(SKIP_1) | instid1(VALU_DEP_2)
	v_cndmask_b32_e64 v1, 0, 0x100, vcc_lo
	v_add_co_ci_u32_e64 v3, null, 0, v3, vcc_lo
	v_or_b32_e32 v0, v1, v0
	s_bitcmp0_b64 s[4:5], 9
	s_cbranch_scc1 .LBB1_199
.LBB1_344:
	v_cmp_gt_i32_e32 vcc_lo, 1, v2
	v_cmp_gt_u32_e64 s2, s6, v3
	v_add_nc_u32_e32 v2, -1, v2
	s_and_b32 vcc_lo, vcc_lo, s2
	s_delay_alu instid0(SALU_CYCLE_1) | instskip(SKIP_1) | instid1(VALU_DEP_2)
	v_cndmask_b32_e64 v1, 0, 0x200, vcc_lo
	v_add_co_ci_u32_e64 v3, null, 0, v3, vcc_lo
	v_or_b32_e32 v0, v1, v0
	s_bitcmp0_b64 s[4:5], 10
	s_cbranch_scc1 .LBB1_200
.LBB1_345:
	v_cmp_gt_i32_e32 vcc_lo, 1, v2
	v_cmp_gt_u32_e64 s2, s6, v3
	v_add_nc_u32_e32 v2, -1, v2
	s_and_b32 vcc_lo, vcc_lo, s2
	s_delay_alu instid0(SALU_CYCLE_1) | instskip(SKIP_1) | instid1(VALU_DEP_2)
	v_cndmask_b32_e64 v1, 0, 0x400, vcc_lo
	v_add_co_ci_u32_e64 v3, null, 0, v3, vcc_lo
	v_or_b32_e32 v0, v1, v0
	s_bitcmp0_b64 s[4:5], 11
	s_cbranch_scc1 .LBB1_201
.LBB1_346:
	v_cmp_gt_i32_e32 vcc_lo, 1, v2
	v_cmp_gt_u32_e64 s2, s6, v3
	v_add_nc_u32_e32 v2, -1, v2
	s_and_b32 vcc_lo, vcc_lo, s2
	s_delay_alu instid0(SALU_CYCLE_1) | instskip(SKIP_1) | instid1(VALU_DEP_2)
	v_cndmask_b32_e64 v1, 0, 0x800, vcc_lo
	v_add_co_ci_u32_e64 v3, null, 0, v3, vcc_lo
	v_or_b32_e32 v0, v1, v0
	s_bitcmp0_b64 s[4:5], 12
	s_cbranch_scc1 .LBB1_202
.LBB1_347:
	v_cmp_gt_i32_e32 vcc_lo, 1, v2
	v_cmp_gt_u32_e64 s2, s6, v3
	v_add_nc_u32_e32 v2, -1, v2
	s_and_b32 vcc_lo, vcc_lo, s2
	s_delay_alu instid0(SALU_CYCLE_1) | instskip(SKIP_1) | instid1(VALU_DEP_2)
	v_cndmask_b32_e64 v1, 0, 0x1000, vcc_lo
	v_add_co_ci_u32_e64 v3, null, 0, v3, vcc_lo
	v_or_b32_e32 v0, v1, v0
	s_bitcmp0_b64 s[4:5], 13
	s_cbranch_scc1 .LBB1_203
.LBB1_348:
	v_cmp_gt_i32_e32 vcc_lo, 1, v2
	v_cmp_gt_u32_e64 s2, s6, v3
	v_add_nc_u32_e32 v2, -1, v2
	s_and_b32 vcc_lo, vcc_lo, s2
	s_delay_alu instid0(SALU_CYCLE_1) | instskip(SKIP_1) | instid1(VALU_DEP_2)
	v_cndmask_b32_e64 v1, 0, 0x2000, vcc_lo
	v_add_co_ci_u32_e64 v3, null, 0, v3, vcc_lo
	v_or_b32_e32 v0, v1, v0
	s_bitcmp0_b64 s[4:5], 14
	s_cbranch_scc1 .LBB1_204
.LBB1_349:
	v_cmp_gt_i32_e32 vcc_lo, 1, v2
	v_cmp_gt_u32_e64 s2, s6, v3
	v_add_nc_u32_e32 v2, -1, v2
	s_and_b32 vcc_lo, vcc_lo, s2
	s_delay_alu instid0(SALU_CYCLE_1) | instskip(SKIP_1) | instid1(VALU_DEP_2)
	v_cndmask_b32_e64 v1, 0, 0x4000, vcc_lo
	v_add_co_ci_u32_e64 v3, null, 0, v3, vcc_lo
	v_or_b32_e32 v0, v1, v0
	s_bitcmp0_b64 s[4:5], 15
	s_cbranch_scc1 .LBB1_205
.LBB1_350:
	v_cmp_gt_i32_e32 vcc_lo, 1, v2
	v_cmp_gt_u32_e64 s2, s6, v3
	v_add_nc_u32_e32 v2, -1, v2
	s_and_b32 vcc_lo, vcc_lo, s2
	s_delay_alu instid0(SALU_CYCLE_1) | instskip(SKIP_1) | instid1(VALU_DEP_2)
	v_cndmask_b32_e64 v1, 0, 0x8000, vcc_lo
	v_add_co_ci_u32_e64 v3, null, 0, v3, vcc_lo
	v_or_b32_e32 v0, v1, v0
	s_bitcmp0_b64 s[4:5], 16
	s_cbranch_scc1 .LBB1_206
.LBB1_351:
	v_cmp_gt_i32_e32 vcc_lo, 1, v2
	v_cmp_gt_u32_e64 s2, s6, v3
	v_add_nc_u32_e32 v2, -1, v2
	s_and_b32 vcc_lo, vcc_lo, s2
	s_delay_alu instid0(SALU_CYCLE_1) | instskip(SKIP_1) | instid1(VALU_DEP_2)
	v_cndmask_b32_e64 v1, 0, 0x10000, vcc_lo
	v_add_co_ci_u32_e64 v3, null, 0, v3, vcc_lo
	v_or_b32_e32 v0, v1, v0
	s_bitcmp0_b64 s[4:5], 17
	s_cbranch_scc1 .LBB1_207
.LBB1_352:
	v_cmp_gt_i32_e32 vcc_lo, 1, v2
	v_cmp_gt_u32_e64 s2, s6, v3
	v_add_nc_u32_e32 v2, -1, v2
	s_and_b32 vcc_lo, vcc_lo, s2
	s_delay_alu instid0(SALU_CYCLE_1) | instskip(SKIP_1) | instid1(VALU_DEP_2)
	v_cndmask_b32_e64 v1, 0, 0x20000, vcc_lo
	v_add_co_ci_u32_e64 v3, null, 0, v3, vcc_lo
	v_or_b32_e32 v0, v1, v0
	s_bitcmp0_b64 s[4:5], 18
	s_cbranch_scc1 .LBB1_208
.LBB1_353:
	v_cmp_gt_i32_e32 vcc_lo, 1, v2
	v_cmp_gt_u32_e64 s2, s6, v3
	v_add_nc_u32_e32 v2, -1, v2
	s_and_b32 vcc_lo, vcc_lo, s2
	s_delay_alu instid0(SALU_CYCLE_1) | instskip(SKIP_1) | instid1(VALU_DEP_2)
	v_cndmask_b32_e64 v1, 0, 0x40000, vcc_lo
	v_add_co_ci_u32_e64 v3, null, 0, v3, vcc_lo
	v_or_b32_e32 v0, v1, v0
	s_bitcmp0_b64 s[4:5], 19
	s_cbranch_scc1 .LBB1_209
.LBB1_354:
	v_cmp_gt_i32_e32 vcc_lo, 1, v2
	v_cmp_gt_u32_e64 s2, s6, v3
	v_add_nc_u32_e32 v2, -1, v2
	s_and_b32 vcc_lo, vcc_lo, s2
	s_delay_alu instid0(SALU_CYCLE_1) | instskip(SKIP_1) | instid1(VALU_DEP_2)
	v_cndmask_b32_e64 v1, 0, 0x80000, vcc_lo
	v_add_co_ci_u32_e64 v3, null, 0, v3, vcc_lo
	v_or_b32_e32 v0, v1, v0
	s_bitcmp0_b64 s[4:5], 20
	s_cbranch_scc1 .LBB1_210
.LBB1_355:
	v_cmp_gt_i32_e32 vcc_lo, 1, v2
	v_cmp_gt_u32_e64 s2, s6, v3
	v_add_nc_u32_e32 v2, -1, v2
	s_and_b32 vcc_lo, vcc_lo, s2
	s_delay_alu instid0(SALU_CYCLE_1) | instskip(SKIP_1) | instid1(VALU_DEP_2)
	v_cndmask_b32_e64 v1, 0, 0x100000, vcc_lo
	v_add_co_ci_u32_e64 v3, null, 0, v3, vcc_lo
	v_or_b32_e32 v0, v1, v0
	s_bitcmp0_b64 s[4:5], 21
	s_cbranch_scc1 .LBB1_211
.LBB1_356:
	v_cmp_gt_i32_e32 vcc_lo, 1, v2
	v_cmp_gt_u32_e64 s2, s6, v3
	v_add_nc_u32_e32 v2, -1, v2
	s_and_b32 vcc_lo, vcc_lo, s2
	s_delay_alu instid0(SALU_CYCLE_1) | instskip(SKIP_1) | instid1(VALU_DEP_2)
	v_cndmask_b32_e64 v1, 0, 0x200000, vcc_lo
	v_add_co_ci_u32_e64 v3, null, 0, v3, vcc_lo
	v_or_b32_e32 v0, v1, v0
	s_bitcmp0_b64 s[4:5], 22
	s_cbranch_scc1 .LBB1_212
.LBB1_357:
	v_cmp_gt_i32_e32 vcc_lo, 1, v2
	v_cmp_gt_u32_e64 s2, s6, v3
	v_add_nc_u32_e32 v2, -1, v2
	s_and_b32 vcc_lo, vcc_lo, s2
	s_delay_alu instid0(SALU_CYCLE_1) | instskip(SKIP_1) | instid1(VALU_DEP_2)
	v_cndmask_b32_e64 v1, 0, 0x400000, vcc_lo
	v_add_co_ci_u32_e64 v3, null, 0, v3, vcc_lo
	v_or_b32_e32 v0, v1, v0
	s_bitcmp0_b64 s[4:5], 23
	s_cbranch_scc1 .LBB1_213
.LBB1_358:
	v_cmp_gt_i32_e32 vcc_lo, 1, v2
	v_cmp_gt_u32_e64 s2, s6, v3
	v_add_nc_u32_e32 v2, -1, v2
	s_and_b32 vcc_lo, vcc_lo, s2
	s_delay_alu instid0(SALU_CYCLE_1) | instskip(SKIP_1) | instid1(VALU_DEP_2)
	v_cndmask_b32_e64 v1, 0, 0x800000, vcc_lo
	v_add_co_ci_u32_e64 v3, null, 0, v3, vcc_lo
	v_or_b32_e32 v0, v1, v0
	s_bitcmp0_b64 s[4:5], 24
	s_cbranch_scc1 .LBB1_214
.LBB1_359:
	v_cmp_gt_i32_e32 vcc_lo, 1, v2
	v_cmp_gt_u32_e64 s2, s6, v3
	v_add_nc_u32_e32 v2, -1, v2
	s_and_b32 vcc_lo, vcc_lo, s2
	s_delay_alu instid0(SALU_CYCLE_1) | instskip(SKIP_1) | instid1(VALU_DEP_2)
	v_cndmask_b32_e64 v1, 0, 0x1000000, vcc_lo
	v_add_co_ci_u32_e64 v3, null, 0, v3, vcc_lo
	v_or_b32_e32 v0, v1, v0
	s_bitcmp0_b64 s[4:5], 25
	s_cbranch_scc1 .LBB1_215
.LBB1_360:
	v_cmp_gt_i32_e32 vcc_lo, 1, v2
	v_cmp_gt_u32_e64 s2, s6, v3
	v_add_nc_u32_e32 v2, -1, v2
	s_and_b32 vcc_lo, vcc_lo, s2
	s_delay_alu instid0(SALU_CYCLE_1) | instskip(SKIP_1) | instid1(VALU_DEP_2)
	v_cndmask_b32_e64 v1, 0, 0x2000000, vcc_lo
	v_add_co_ci_u32_e64 v3, null, 0, v3, vcc_lo
	v_or_b32_e32 v0, v1, v0
	s_bitcmp0_b64 s[4:5], 26
	s_cbranch_scc1 .LBB1_216
.LBB1_361:
	v_cmp_gt_i32_e32 vcc_lo, 1, v2
	v_cmp_gt_u32_e64 s2, s6, v3
	v_add_nc_u32_e32 v2, -1, v2
	s_and_b32 vcc_lo, vcc_lo, s2
	s_delay_alu instid0(SALU_CYCLE_1) | instskip(SKIP_1) | instid1(VALU_DEP_2)
	v_cndmask_b32_e64 v1, 0, 0x4000000, vcc_lo
	v_add_co_ci_u32_e64 v3, null, 0, v3, vcc_lo
	v_or_b32_e32 v0, v1, v0
	s_bitcmp0_b64 s[4:5], 27
	s_cbranch_scc1 .LBB1_217
.LBB1_362:
	v_cmp_gt_i32_e32 vcc_lo, 1, v2
	v_cmp_gt_u32_e64 s2, s6, v3
	v_add_nc_u32_e32 v2, -1, v2
	s_and_b32 vcc_lo, vcc_lo, s2
	s_delay_alu instid0(SALU_CYCLE_1) | instskip(SKIP_1) | instid1(VALU_DEP_2)
	v_cndmask_b32_e64 v1, 0, 0x8000000, vcc_lo
	v_add_co_ci_u32_e64 v3, null, 0, v3, vcc_lo
	v_or_b32_e32 v0, v1, v0
	s_bitcmp0_b64 s[4:5], 28
	s_cbranch_scc1 .LBB1_218
.LBB1_363:
	v_cmp_gt_i32_e32 vcc_lo, 1, v2
	v_cmp_gt_u32_e64 s2, s6, v3
	v_add_nc_u32_e32 v2, -1, v2
	s_and_b32 vcc_lo, vcc_lo, s2
	s_delay_alu instid0(SALU_CYCLE_1) | instskip(SKIP_1) | instid1(VALU_DEP_2)
	v_cndmask_b32_e64 v1, 0, 0x10000000, vcc_lo
	v_add_co_ci_u32_e64 v3, null, 0, v3, vcc_lo
	v_or_b32_e32 v0, v1, v0
	s_bitcmp0_b64 s[4:5], 29
	s_cbranch_scc1 .LBB1_219
.LBB1_364:
	v_cmp_gt_i32_e32 vcc_lo, 1, v2
	v_cmp_gt_u32_e64 s2, s6, v3
	v_add_nc_u32_e32 v2, -1, v2
	s_and_b32 vcc_lo, vcc_lo, s2
	s_delay_alu instid0(SALU_CYCLE_1) | instskip(SKIP_1) | instid1(VALU_DEP_2)
	v_cndmask_b32_e64 v1, 0, 0x20000000, vcc_lo
	v_add_co_ci_u32_e64 v3, null, 0, v3, vcc_lo
	v_or_b32_e32 v0, v1, v0
	s_bitcmp0_b64 s[4:5], 30
	s_cbranch_scc0 .LBB1_220
	s_branch .LBB1_221
.LBB1_365:
                                        ; implicit-def: $vgpr4_vgpr5
	s_cbranch_execz .LBB1_393
; %bb.366:
	v_readfirstlane_b32 s3, v34
	s_wait_loadcnt 0x0
	v_mov_b64_e32 v[4:5], 0
	s_delay_alu instid0(VALU_DEP_2)
	v_cmp_eq_u32_e64 s3, s3, v34
	s_and_saveexec_b32 s7, s3
	s_cbranch_execz .LBB1_372
; %bb.367:
	v_mov_b32_e32 v1, 0
	s_mov_b32 s8, exec_lo
	global_load_b64 v[6:7], v1, s[4:5] offset:24 scope:SCOPE_SYS
	s_wait_loadcnt 0x0
	global_inv scope:SCOPE_SYS
	s_clause 0x1
	global_load_b64 v[4:5], v1, s[4:5] offset:40
	global_load_b64 v[8:9], v1, s[4:5]
	s_wait_loadcnt 0x1
	v_and_b32_e32 v4, v4, v6
	v_and_b32_e32 v5, v5, v7
	s_delay_alu instid0(VALU_DEP_1) | instskip(SKIP_1) | instid1(VALU_DEP_1)
	v_mul_u64_e32 v[4:5], 24, v[4:5]
	s_wait_loadcnt 0x0
	v_add_nc_u64_e32 v[4:5], v[8:9], v[4:5]
	global_load_b64 v[4:5], v[4:5], off scope:SCOPE_SYS
	s_wait_xcnt 0x0
	s_wait_loadcnt 0x0
	global_atomic_cmpswap_b64 v[4:5], v1, v[4:7], s[4:5] offset:24 th:TH_ATOMIC_RETURN scope:SCOPE_SYS
	s_wait_loadcnt 0x0
	global_inv scope:SCOPE_SYS
	s_wait_xcnt 0x0
	v_cmpx_ne_u64_e64 v[4:5], v[6:7]
	s_cbranch_execz .LBB1_371
; %bb.368:
	s_mov_b32 s9, 0
.LBB1_369:                              ; =>This Inner Loop Header: Depth=1
	s_sleep 1
	s_clause 0x1
	global_load_b64 v[8:9], v1, s[4:5] offset:40
	global_load_b64 v[10:11], v1, s[4:5]
	v_mov_b64_e32 v[6:7], v[4:5]
	s_wait_loadcnt 0x1
	s_delay_alu instid0(VALU_DEP_1) | instskip(NEXT) | instid1(VALU_DEP_2)
	v_and_b32_e32 v4, v8, v6
	v_and_b32_e32 v8, v9, v7
	s_wait_loadcnt 0x0
	s_delay_alu instid0(VALU_DEP_2) | instskip(NEXT) | instid1(VALU_DEP_1)
	v_mad_nc_u64_u32 v[4:5], v4, 24, v[10:11]
	v_mad_u32 v5, v8, 24, v5
	global_load_b64 v[4:5], v[4:5], off scope:SCOPE_SYS
	s_wait_xcnt 0x0
	s_wait_loadcnt 0x0
	global_atomic_cmpswap_b64 v[4:5], v1, v[4:7], s[4:5] offset:24 th:TH_ATOMIC_RETURN scope:SCOPE_SYS
	s_wait_loadcnt 0x0
	global_inv scope:SCOPE_SYS
	v_cmp_eq_u64_e32 vcc_lo, v[4:5], v[6:7]
	s_or_b32 s9, vcc_lo, s9
	s_wait_xcnt 0x0
	s_and_not1_b32 exec_lo, exec_lo, s9
	s_cbranch_execnz .LBB1_369
; %bb.370:
	s_or_b32 exec_lo, exec_lo, s9
.LBB1_371:
	s_delay_alu instid0(SALU_CYCLE_1)
	s_or_b32 exec_lo, exec_lo, s8
.LBB1_372:
	s_delay_alu instid0(SALU_CYCLE_1)
	s_or_b32 exec_lo, exec_lo, s7
	v_readfirstlane_b32 s8, v4
	v_mov_b32_e32 v1, 0
	v_readfirstlane_b32 s9, v5
	s_mov_b32 s7, exec_lo
	s_clause 0x1
	global_load_b64 v[10:11], v1, s[4:5] offset:40
	global_load_b128 v[6:9], v1, s[4:5]
	s_wait_loadcnt 0x1
	v_and_b32_e32 v4, s8, v10
	v_and_b32_e32 v5, s9, v11
	s_delay_alu instid0(VALU_DEP_1) | instskip(SKIP_1) | instid1(VALU_DEP_1)
	v_mul_u64_e32 v[10:11], 24, v[4:5]
	s_wait_loadcnt 0x0
	v_add_nc_u64_e32 v[10:11], v[6:7], v[10:11]
	s_wait_xcnt 0x0
	s_and_saveexec_b32 s10, s3
	s_cbranch_execz .LBB1_374
; %bb.373:
	v_mov_b64_e32 v[14:15], 0x100000002
	v_dual_mov_b32 v12, s7 :: v_dual_mov_b32 v13, v1
	global_store_b128 v[10:11], v[12:15], off offset:8
.LBB1_374:
	s_wait_xcnt 0x0
	s_or_b32 exec_lo, exec_lo, s10
	v_lshlrev_b64_e32 v[4:5], 12, v[4:5]
	s_mov_b32 s12, 0
	v_and_or_b32 v2, 0xffffff1f, v2, 32
	s_mov_b32 s13, s12
	s_mov_b32 s14, s12
	;; [unrolled: 1-line block ×3, first 2 shown]
	v_mov_b64_e32 v[12:13], s[12:13]
	v_add_nc_u64_e32 v[8:9], v[8:9], v[4:5]
	v_mov_b64_e32 v[14:15], s[14:15]
	v_dual_mov_b32 v4, v1 :: v_dual_mov_b32 v5, v1
	s_delay_alu instid0(VALU_DEP_3) | instskip(NEXT) | instid1(VALU_DEP_4)
	v_readfirstlane_b32 s10, v8
	v_readfirstlane_b32 s11, v9
	s_clause 0x3
	global_store_b128 v0, v[2:5], s[10:11]
	global_store_b128 v0, v[12:15], s[10:11] offset:16
	global_store_b128 v0, v[12:15], s[10:11] offset:32
	;; [unrolled: 1-line block ×3, first 2 shown]
	s_wait_xcnt 0x0
	s_and_saveexec_b32 s7, s3
	s_cbranch_execz .LBB1_382
; %bb.375:
	v_dual_mov_b32 v12, 0 :: v_dual_mov_b32 v15, s9
	s_mov_b32 s10, exec_lo
	s_clause 0x1
	global_load_b64 v[16:17], v12, s[4:5] offset:32 scope:SCOPE_SYS
	global_load_b64 v[2:3], v12, s[4:5] offset:40
	s_wait_loadcnt 0x0
	v_dual_mov_b32 v14, s8 :: v_dual_bitop2_b32 v3, s9, v3 bitop3:0x40
	v_and_b32_e32 v2, s8, v2
	s_delay_alu instid0(VALU_DEP_1) | instskip(NEXT) | instid1(VALU_DEP_1)
	v_mul_u64_e32 v[2:3], 24, v[2:3]
	v_add_nc_u64_e32 v[6:7], v[6:7], v[2:3]
	global_store_b64 v[6:7], v[16:17], off
	global_wb scope:SCOPE_SYS
	s_wait_storecnt 0x0
	s_wait_xcnt 0x0
	global_atomic_cmpswap_b64 v[4:5], v12, v[14:17], s[4:5] offset:32 th:TH_ATOMIC_RETURN scope:SCOPE_SYS
	s_wait_loadcnt 0x0
	v_cmpx_ne_u64_e64 v[4:5], v[16:17]
	s_cbranch_execz .LBB1_378
; %bb.376:
	s_mov_b32 s11, 0
.LBB1_377:                              ; =>This Inner Loop Header: Depth=1
	v_dual_mov_b32 v2, s8 :: v_dual_mov_b32 v3, s9
	s_sleep 1
	global_store_b64 v[6:7], v[4:5], off
	global_wb scope:SCOPE_SYS
	s_wait_storecnt 0x0
	s_wait_xcnt 0x0
	global_atomic_cmpswap_b64 v[2:3], v12, v[2:5], s[4:5] offset:32 th:TH_ATOMIC_RETURN scope:SCOPE_SYS
	s_wait_loadcnt 0x0
	v_cmp_eq_u64_e32 vcc_lo, v[2:3], v[4:5]
	v_mov_b64_e32 v[4:5], v[2:3]
	s_or_b32 s11, vcc_lo, s11
	s_delay_alu instid0(SALU_CYCLE_1)
	s_and_not1_b32 exec_lo, exec_lo, s11
	s_cbranch_execnz .LBB1_377
.LBB1_378:
	s_or_b32 exec_lo, exec_lo, s10
	v_mov_b32_e32 v5, 0
	s_mov_b32 s11, exec_lo
	s_mov_b32 s10, exec_lo
	v_mbcnt_lo_u32_b32 v4, s11, 0
	global_load_b64 v[2:3], v5, s[4:5] offset:16
	s_wait_xcnt 0x0
	v_cmpx_eq_u32_e32 0, v4
	s_cbranch_execz .LBB1_380
; %bb.379:
	s_bcnt1_i32_b32 s11, s11
	s_delay_alu instid0(SALU_CYCLE_1)
	v_mov_b32_e32 v4, s11
	global_wb scope:SCOPE_SYS
	s_wait_loadcnt 0x0
	s_wait_storecnt 0x0
	global_atomic_add_u64 v[2:3], v[4:5], off offset:8 scope:SCOPE_SYS
.LBB1_380:
	s_wait_xcnt 0x0
	s_or_b32 exec_lo, exec_lo, s10
	s_wait_loadcnt 0x0
	global_load_b64 v[4:5], v[2:3], off offset:16
	s_wait_loadcnt 0x0
	v_cmp_eq_u64_e32 vcc_lo, 0, v[4:5]
	s_cbranch_vccnz .LBB1_382
; %bb.381:
	global_load_b32 v2, v[2:3], off offset:24
	s_wait_xcnt 0x0
	v_mov_b32_e32 v3, 0
	s_wait_loadcnt 0x0
	v_readfirstlane_b32 s10, v2
	global_wb scope:SCOPE_SYS
	s_wait_storecnt 0x0
	global_store_b64 v[4:5], v[2:3], off scope:SCOPE_SYS
	s_and_b32 m0, s10, 0xffffff
	s_sendmsg sendmsg(MSG_INTERRUPT)
.LBB1_382:
	s_wait_xcnt 0x0
	s_or_b32 exec_lo, exec_lo, s7
	v_add_nc_u64_e32 v[2:3], v[8:9], v[0:1]
	s_branch .LBB1_386
.LBB1_383:                              ;   in Loop: Header=BB1_386 Depth=1
	s_wait_xcnt 0x0
	s_or_b32 exec_lo, exec_lo, s7
	s_delay_alu instid0(VALU_DEP_1)
	v_readfirstlane_b32 s7, v1
	s_cmp_eq_u32 s7, 0
	s_cbranch_scc1 .LBB1_385
; %bb.384:                              ;   in Loop: Header=BB1_386 Depth=1
	s_sleep 1
	s_cbranch_execnz .LBB1_386
	s_branch .LBB1_388
.LBB1_385:
	s_branch .LBB1_388
.LBB1_386:                              ; =>This Inner Loop Header: Depth=1
	v_mov_b32_e32 v1, 1
	s_and_saveexec_b32 s7, s3
	s_cbranch_execz .LBB1_383
; %bb.387:                              ;   in Loop: Header=BB1_386 Depth=1
	global_load_b32 v1, v[10:11], off offset:20 scope:SCOPE_SYS
	s_wait_loadcnt 0x0
	global_inv scope:SCOPE_SYS
	v_and_b32_e32 v1, 1, v1
	s_branch .LBB1_383
.LBB1_388:
	global_load_b64 v[4:5], v[2:3], off
	s_wait_xcnt 0x0
	s_and_saveexec_b32 s7, s3
	s_cbranch_execz .LBB1_392
; %bb.389:
	v_mov_b32_e32 v1, 0
	s_clause 0x2
	global_load_b64 v[2:3], v1, s[4:5] offset:40
	global_load_b64 v[10:11], v1, s[4:5] offset:24 scope:SCOPE_SYS
	global_load_b64 v[6:7], v1, s[4:5]
	s_wait_loadcnt 0x2
	v_readfirstlane_b32 s10, v2
	v_readfirstlane_b32 s11, v3
	s_add_nc_u64 s[12:13], s[10:11], 1
	s_delay_alu instid0(SALU_CYCLE_1) | instskip(NEXT) | instid1(SALU_CYCLE_1)
	s_add_nc_u64 s[8:9], s[12:13], s[8:9]
	s_cmp_eq_u64 s[8:9], 0
	s_cselect_b32 s9, s13, s9
	s_cselect_b32 s8, s12, s8
	v_mov_b32_e32 v9, s9
	s_and_b64 s[10:11], s[8:9], s[10:11]
	v_mov_b32_e32 v8, s8
	s_mul_u64 s[10:11], s[10:11], 24
	s_wait_loadcnt 0x0
	v_add_nc_u64_e32 v[2:3], s[10:11], v[6:7]
	global_store_b64 v[2:3], v[10:11], off
	global_wb scope:SCOPE_SYS
	s_wait_storecnt 0x0
	s_wait_xcnt 0x0
	global_atomic_cmpswap_b64 v[8:9], v1, v[8:11], s[4:5] offset:24 th:TH_ATOMIC_RETURN scope:SCOPE_SYS
	s_wait_loadcnt 0x0
	v_cmp_ne_u64_e32 vcc_lo, v[8:9], v[10:11]
	s_and_b32 exec_lo, exec_lo, vcc_lo
	s_cbranch_execz .LBB1_392
; %bb.390:
	s_mov_b32 s3, 0
.LBB1_391:                              ; =>This Inner Loop Header: Depth=1
	v_dual_mov_b32 v6, s8 :: v_dual_mov_b32 v7, s9
	s_sleep 1
	global_store_b64 v[2:3], v[8:9], off
	global_wb scope:SCOPE_SYS
	s_wait_storecnt 0x0
	s_wait_xcnt 0x0
	global_atomic_cmpswap_b64 v[6:7], v1, v[6:9], s[4:5] offset:24 th:TH_ATOMIC_RETURN scope:SCOPE_SYS
	s_wait_loadcnt 0x0
	v_cmp_eq_u64_e32 vcc_lo, v[6:7], v[8:9]
	v_mov_b64_e32 v[8:9], v[6:7]
	s_or_b32 s3, vcc_lo, s3
	s_delay_alu instid0(SALU_CYCLE_1)
	s_and_not1_b32 exec_lo, exec_lo, s3
	s_cbranch_execnz .LBB1_391
.LBB1_392:
	s_or_b32 exec_lo, exec_lo, s7
.LBB1_393:
	v_readfirstlane_b32 s3, v34
	s_wait_loadcnt 0x0
	v_mov_b64_e32 v[2:3], 0
	s_delay_alu instid0(VALU_DEP_2)
	v_cmp_eq_u32_e64 s3, s3, v34
	s_and_saveexec_b32 s7, s3
	s_cbranch_execz .LBB1_399
; %bb.394:
	v_mov_b32_e32 v1, 0
	s_mov_b32 s8, exec_lo
	global_load_b64 v[8:9], v1, s[4:5] offset:24 scope:SCOPE_SYS
	s_wait_loadcnt 0x0
	global_inv scope:SCOPE_SYS
	s_clause 0x1
	global_load_b64 v[2:3], v1, s[4:5] offset:40
	global_load_b64 v[6:7], v1, s[4:5]
	s_wait_loadcnt 0x1
	v_and_b32_e32 v2, v2, v8
	v_and_b32_e32 v3, v3, v9
	s_delay_alu instid0(VALU_DEP_1) | instskip(SKIP_1) | instid1(VALU_DEP_1)
	v_mul_u64_e32 v[2:3], 24, v[2:3]
	s_wait_loadcnt 0x0
	v_add_nc_u64_e32 v[2:3], v[6:7], v[2:3]
	global_load_b64 v[6:7], v[2:3], off scope:SCOPE_SYS
	s_wait_xcnt 0x0
	s_wait_loadcnt 0x0
	global_atomic_cmpswap_b64 v[2:3], v1, v[6:9], s[4:5] offset:24 th:TH_ATOMIC_RETURN scope:SCOPE_SYS
	s_wait_loadcnt 0x0
	global_inv scope:SCOPE_SYS
	s_wait_xcnt 0x0
	v_cmpx_ne_u64_e64 v[2:3], v[8:9]
	s_cbranch_execz .LBB1_398
; %bb.395:
	s_mov_b32 s9, 0
.LBB1_396:                              ; =>This Inner Loop Header: Depth=1
	s_sleep 1
	s_clause 0x1
	global_load_b64 v[6:7], v1, s[4:5] offset:40
	global_load_b64 v[10:11], v1, s[4:5]
	v_mov_b64_e32 v[8:9], v[2:3]
	s_wait_loadcnt 0x1
	s_delay_alu instid0(VALU_DEP_1) | instskip(NEXT) | instid1(VALU_DEP_2)
	v_and_b32_e32 v2, v6, v8
	v_and_b32_e32 v6, v7, v9
	s_wait_loadcnt 0x0
	s_delay_alu instid0(VALU_DEP_2) | instskip(NEXT) | instid1(VALU_DEP_1)
	v_mad_nc_u64_u32 v[2:3], v2, 24, v[10:11]
	v_mad_u32 v3, v6, 24, v3
	global_load_b64 v[6:7], v[2:3], off scope:SCOPE_SYS
	s_wait_xcnt 0x0
	s_wait_loadcnt 0x0
	global_atomic_cmpswap_b64 v[2:3], v1, v[6:9], s[4:5] offset:24 th:TH_ATOMIC_RETURN scope:SCOPE_SYS
	s_wait_loadcnt 0x0
	global_inv scope:SCOPE_SYS
	v_cmp_eq_u64_e32 vcc_lo, v[2:3], v[8:9]
	s_or_b32 s9, vcc_lo, s9
	s_wait_xcnt 0x0
	s_and_not1_b32 exec_lo, exec_lo, s9
	s_cbranch_execnz .LBB1_396
; %bb.397:
	s_or_b32 exec_lo, exec_lo, s9
.LBB1_398:
	s_delay_alu instid0(SALU_CYCLE_1)
	s_or_b32 exec_lo, exec_lo, s8
.LBB1_399:
	s_delay_alu instid0(SALU_CYCLE_1)
	s_or_b32 exec_lo, exec_lo, s7
	v_readfirstlane_b32 s8, v2
	v_mov_b32_e32 v1, 0
	v_readfirstlane_b32 s9, v3
	s_mov_b32 s7, exec_lo
	s_clause 0x1
	global_load_b64 v[6:7], v1, s[4:5] offset:40
	global_load_b128 v[8:11], v1, s[4:5]
	s_wait_loadcnt 0x1
	v_and_b32_e32 v2, s8, v6
	v_and_b32_e32 v3, s9, v7
	s_delay_alu instid0(VALU_DEP_1) | instskip(SKIP_1) | instid1(VALU_DEP_1)
	v_mul_u64_e32 v[6:7], 24, v[2:3]
	s_wait_loadcnt 0x0
	v_add_nc_u64_e32 v[12:13], v[8:9], v[6:7]
	s_wait_xcnt 0x0
	s_and_saveexec_b32 s10, s3
	s_cbranch_execz .LBB1_401
; %bb.400:
	v_mov_b64_e32 v[16:17], 0x100000002
	v_dual_mov_b32 v14, s7 :: v_dual_mov_b32 v15, v1
	global_store_b128 v[12:13], v[14:17], off offset:8
.LBB1_401:
	s_wait_xcnt 0x0
	s_or_b32 exec_lo, exec_lo, s10
	v_lshlrev_b64_e32 v[2:3], 12, v[2:3]
	s_mov_b32 s12, 0
	v_dual_mov_b32 v7, v1 :: v_dual_add_nc_u32 v6, -1, v36
	s_mov_b32 s14, s12
	s_mov_b32 s15, s12
	s_mov_b32 s13, s12
	s_delay_alu instid0(VALU_DEP_2) | instskip(SKIP_3) | instid1(VALU_DEP_4)
	v_add_nc_u64_e32 v[10:11], v[10:11], v[2:3]
	v_mov_b64_e32 v[16:17], s[14:15]
	v_mov_b64_e32 v[14:15], s[12:13]
	v_and_or_b32 v4, 0xffffff1f, v4, 32
	v_readfirstlane_b32 s10, v10
	v_readfirstlane_b32 s11, v11
	s_clause 0x3
	global_store_b128 v0, v[4:7], s[10:11]
	global_store_b128 v0, v[14:17], s[10:11] offset:16
	global_store_b128 v0, v[14:17], s[10:11] offset:32
	global_store_b128 v0, v[14:17], s[10:11] offset:48
	s_wait_xcnt 0x0
	s_and_saveexec_b32 s7, s3
	s_cbranch_execz .LBB1_409
; %bb.402:
	v_dual_mov_b32 v14, 0 :: v_dual_mov_b32 v17, s9
	s_mov_b32 s10, exec_lo
	s_clause 0x1
	global_load_b64 v[18:19], v14, s[4:5] offset:32 scope:SCOPE_SYS
	global_load_b64 v[2:3], v14, s[4:5] offset:40
	s_wait_loadcnt 0x0
	v_dual_mov_b32 v16, s8 :: v_dual_bitop2_b32 v3, s9, v3 bitop3:0x40
	v_and_b32_e32 v2, s8, v2
	s_delay_alu instid0(VALU_DEP_1) | instskip(NEXT) | instid1(VALU_DEP_1)
	v_mul_u64_e32 v[2:3], 24, v[2:3]
	v_add_nc_u64_e32 v[6:7], v[8:9], v[2:3]
	global_store_b64 v[6:7], v[18:19], off
	global_wb scope:SCOPE_SYS
	s_wait_storecnt 0x0
	s_wait_xcnt 0x0
	global_atomic_cmpswap_b64 v[4:5], v14, v[16:19], s[4:5] offset:32 th:TH_ATOMIC_RETURN scope:SCOPE_SYS
	s_wait_loadcnt 0x0
	v_cmpx_ne_u64_e64 v[4:5], v[18:19]
	s_cbranch_execz .LBB1_405
; %bb.403:
	s_mov_b32 s11, 0
.LBB1_404:                              ; =>This Inner Loop Header: Depth=1
	v_dual_mov_b32 v2, s8 :: v_dual_mov_b32 v3, s9
	s_sleep 1
	global_store_b64 v[6:7], v[4:5], off
	global_wb scope:SCOPE_SYS
	s_wait_storecnt 0x0
	s_wait_xcnt 0x0
	global_atomic_cmpswap_b64 v[2:3], v14, v[2:5], s[4:5] offset:32 th:TH_ATOMIC_RETURN scope:SCOPE_SYS
	s_wait_loadcnt 0x0
	v_cmp_eq_u64_e32 vcc_lo, v[2:3], v[4:5]
	v_mov_b64_e32 v[4:5], v[2:3]
	s_or_b32 s11, vcc_lo, s11
	s_delay_alu instid0(SALU_CYCLE_1)
	s_and_not1_b32 exec_lo, exec_lo, s11
	s_cbranch_execnz .LBB1_404
.LBB1_405:
	s_or_b32 exec_lo, exec_lo, s10
	v_mov_b32_e32 v5, 0
	s_mov_b32 s11, exec_lo
	s_mov_b32 s10, exec_lo
	v_mbcnt_lo_u32_b32 v4, s11, 0
	global_load_b64 v[2:3], v5, s[4:5] offset:16
	s_wait_xcnt 0x0
	v_cmpx_eq_u32_e32 0, v4
	s_cbranch_execz .LBB1_407
; %bb.406:
	s_bcnt1_i32_b32 s11, s11
	s_delay_alu instid0(SALU_CYCLE_1)
	v_mov_b32_e32 v4, s11
	global_wb scope:SCOPE_SYS
	s_wait_loadcnt 0x0
	s_wait_storecnt 0x0
	global_atomic_add_u64 v[2:3], v[4:5], off offset:8 scope:SCOPE_SYS
.LBB1_407:
	s_wait_xcnt 0x0
	s_or_b32 exec_lo, exec_lo, s10
	s_wait_loadcnt 0x0
	global_load_b64 v[4:5], v[2:3], off offset:16
	s_wait_loadcnt 0x0
	v_cmp_eq_u64_e32 vcc_lo, 0, v[4:5]
	s_cbranch_vccnz .LBB1_409
; %bb.408:
	global_load_b32 v2, v[2:3], off offset:24
	s_wait_xcnt 0x0
	v_mov_b32_e32 v3, 0
	s_wait_loadcnt 0x0
	v_readfirstlane_b32 s10, v2
	global_wb scope:SCOPE_SYS
	s_wait_storecnt 0x0
	global_store_b64 v[4:5], v[2:3], off scope:SCOPE_SYS
	s_and_b32 m0, s10, 0xffffff
	s_sendmsg sendmsg(MSG_INTERRUPT)
.LBB1_409:
	s_wait_xcnt 0x0
	s_or_b32 exec_lo, exec_lo, s7
	v_add_nc_u64_e32 v[2:3], v[10:11], v[0:1]
	s_branch .LBB1_413
.LBB1_410:                              ;   in Loop: Header=BB1_413 Depth=1
	s_wait_xcnt 0x0
	s_or_b32 exec_lo, exec_lo, s7
	s_delay_alu instid0(VALU_DEP_1)
	v_readfirstlane_b32 s7, v1
	s_cmp_eq_u32 s7, 0
	s_cbranch_scc1 .LBB1_412
; %bb.411:                              ;   in Loop: Header=BB1_413 Depth=1
	s_sleep 1
	s_cbranch_execnz .LBB1_413
	s_branch .LBB1_415
.LBB1_412:
	s_branch .LBB1_415
.LBB1_413:                              ; =>This Inner Loop Header: Depth=1
	v_mov_b32_e32 v1, 1
	s_and_saveexec_b32 s7, s3
	s_cbranch_execz .LBB1_410
; %bb.414:                              ;   in Loop: Header=BB1_413 Depth=1
	global_load_b32 v1, v[12:13], off offset:20 scope:SCOPE_SYS
	s_wait_loadcnt 0x0
	global_inv scope:SCOPE_SYS
	v_and_b32_e32 v1, 1, v1
	s_branch .LBB1_410
.LBB1_415:
	global_load_b64 v[2:3], v[2:3], off
	s_wait_xcnt 0x0
	s_and_saveexec_b32 s7, s3
	s_cbranch_execz .LBB1_419
; %bb.416:
	v_mov_b32_e32 v1, 0
	s_clause 0x2
	global_load_b64 v[4:5], v1, s[4:5] offset:40
	global_load_b64 v[12:13], v1, s[4:5] offset:24 scope:SCOPE_SYS
	global_load_b64 v[6:7], v1, s[4:5]
	s_wait_loadcnt 0x2
	v_readfirstlane_b32 s10, v4
	v_readfirstlane_b32 s11, v5
	s_add_nc_u64 s[12:13], s[10:11], 1
	s_delay_alu instid0(SALU_CYCLE_1) | instskip(NEXT) | instid1(SALU_CYCLE_1)
	s_add_nc_u64 s[8:9], s[12:13], s[8:9]
	s_cmp_eq_u64 s[8:9], 0
	s_cselect_b32 s9, s13, s9
	s_cselect_b32 s8, s12, s8
	v_mov_b32_e32 v11, s9
	s_and_b64 s[10:11], s[8:9], s[10:11]
	v_mov_b32_e32 v10, s8
	s_mul_u64 s[10:11], s[10:11], 24
	s_wait_loadcnt 0x0
	v_add_nc_u64_e32 v[8:9], s[10:11], v[6:7]
	global_store_b64 v[8:9], v[12:13], off
	global_wb scope:SCOPE_SYS
	s_wait_storecnt 0x0
	s_wait_xcnt 0x0
	global_atomic_cmpswap_b64 v[6:7], v1, v[10:13], s[4:5] offset:24 th:TH_ATOMIC_RETURN scope:SCOPE_SYS
	s_wait_loadcnt 0x0
	v_cmp_ne_u64_e32 vcc_lo, v[6:7], v[12:13]
	s_and_b32 exec_lo, exec_lo, vcc_lo
	s_cbranch_execz .LBB1_419
; %bb.417:
	s_mov_b32 s3, 0
.LBB1_418:                              ; =>This Inner Loop Header: Depth=1
	v_dual_mov_b32 v4, s8 :: v_dual_mov_b32 v5, s9
	s_sleep 1
	global_store_b64 v[8:9], v[6:7], off
	global_wb scope:SCOPE_SYS
	s_wait_storecnt 0x0
	s_wait_xcnt 0x0
	global_atomic_cmpswap_b64 v[4:5], v1, v[4:7], s[4:5] offset:24 th:TH_ATOMIC_RETURN scope:SCOPE_SYS
	s_wait_loadcnt 0x0
	v_cmp_eq_u64_e32 vcc_lo, v[4:5], v[6:7]
	v_mov_b64_e32 v[6:7], v[4:5]
	s_or_b32 s3, vcc_lo, s3
	s_delay_alu instid0(SALU_CYCLE_1)
	s_and_not1_b32 exec_lo, exec_lo, s3
	s_cbranch_execnz .LBB1_418
.LBB1_419:
	s_or_b32 exec_lo, exec_lo, s7
	v_readfirstlane_b32 s3, v34
	v_mov_b64_e32 v[4:5], 0
	s_delay_alu instid0(VALU_DEP_2)
	v_cmp_eq_u32_e64 s3, s3, v34
	s_and_saveexec_b32 s7, s3
	s_cbranch_execz .LBB1_425
; %bb.420:
	v_mov_b32_e32 v1, 0
	s_mov_b32 s8, exec_lo
	global_load_b64 v[6:7], v1, s[4:5] offset:24 scope:SCOPE_SYS
	s_wait_loadcnt 0x0
	global_inv scope:SCOPE_SYS
	s_clause 0x1
	global_load_b64 v[4:5], v1, s[4:5] offset:40
	global_load_b64 v[8:9], v1, s[4:5]
	s_wait_loadcnt 0x1
	v_and_b32_e32 v4, v4, v6
	v_and_b32_e32 v5, v5, v7
	s_delay_alu instid0(VALU_DEP_1) | instskip(SKIP_1) | instid1(VALU_DEP_1)
	v_mul_u64_e32 v[4:5], 24, v[4:5]
	s_wait_loadcnt 0x0
	v_add_nc_u64_e32 v[4:5], v[8:9], v[4:5]
	global_load_b64 v[4:5], v[4:5], off scope:SCOPE_SYS
	s_wait_xcnt 0x0
	s_wait_loadcnt 0x0
	global_atomic_cmpswap_b64 v[4:5], v1, v[4:7], s[4:5] offset:24 th:TH_ATOMIC_RETURN scope:SCOPE_SYS
	s_wait_loadcnt 0x0
	global_inv scope:SCOPE_SYS
	s_wait_xcnt 0x0
	v_cmpx_ne_u64_e64 v[4:5], v[6:7]
	s_cbranch_execz .LBB1_424
; %bb.421:
	s_mov_b32 s9, 0
.LBB1_422:                              ; =>This Inner Loop Header: Depth=1
	s_sleep 1
	s_clause 0x1
	global_load_b64 v[8:9], v1, s[4:5] offset:40
	global_load_b64 v[10:11], v1, s[4:5]
	v_mov_b64_e32 v[6:7], v[4:5]
	s_wait_loadcnt 0x1
	s_delay_alu instid0(VALU_DEP_1) | instskip(NEXT) | instid1(VALU_DEP_2)
	v_and_b32_e32 v4, v8, v6
	v_and_b32_e32 v8, v9, v7
	s_wait_loadcnt 0x0
	s_delay_alu instid0(VALU_DEP_2) | instskip(NEXT) | instid1(VALU_DEP_1)
	v_mad_nc_u64_u32 v[4:5], v4, 24, v[10:11]
	v_mad_u32 v5, v8, 24, v5
	global_load_b64 v[4:5], v[4:5], off scope:SCOPE_SYS
	s_wait_xcnt 0x0
	s_wait_loadcnt 0x0
	global_atomic_cmpswap_b64 v[4:5], v1, v[4:7], s[4:5] offset:24 th:TH_ATOMIC_RETURN scope:SCOPE_SYS
	s_wait_loadcnt 0x0
	global_inv scope:SCOPE_SYS
	v_cmp_eq_u64_e32 vcc_lo, v[4:5], v[6:7]
	s_or_b32 s9, vcc_lo, s9
	s_wait_xcnt 0x0
	s_and_not1_b32 exec_lo, exec_lo, s9
	s_cbranch_execnz .LBB1_422
; %bb.423:
	s_or_b32 exec_lo, exec_lo, s9
.LBB1_424:
	s_delay_alu instid0(SALU_CYCLE_1)
	s_or_b32 exec_lo, exec_lo, s8
.LBB1_425:
	s_delay_alu instid0(SALU_CYCLE_1)
	s_or_b32 exec_lo, exec_lo, s7
	v_readfirstlane_b32 s8, v4
	v_mov_b32_e32 v1, 0
	v_readfirstlane_b32 s9, v5
	s_mov_b32 s7, exec_lo
	s_clause 0x1
	global_load_b64 v[10:11], v1, s[4:5] offset:40
	global_load_b128 v[6:9], v1, s[4:5]
	s_wait_loadcnt 0x1
	v_and_b32_e32 v4, s8, v10
	v_and_b32_e32 v5, s9, v11
	s_delay_alu instid0(VALU_DEP_1) | instskip(SKIP_1) | instid1(VALU_DEP_1)
	v_mul_u64_e32 v[10:11], 24, v[4:5]
	s_wait_loadcnt 0x0
	v_add_nc_u64_e32 v[10:11], v[6:7], v[10:11]
	s_wait_xcnt 0x0
	s_and_saveexec_b32 s10, s3
	s_cbranch_execz .LBB1_427
; %bb.426:
	v_mov_b64_e32 v[14:15], 0x100000002
	v_dual_mov_b32 v12, s7 :: v_dual_mov_b32 v13, v1
	global_store_b128 v[10:11], v[12:15], off offset:8
.LBB1_427:
	s_wait_xcnt 0x0
	s_or_b32 exec_lo, exec_lo, s10
	v_lshlrev_b64_e32 v[12:13], 12, v[4:5]
	s_mov_b32 s12, 0
	v_dual_cndmask_b32 v4, -1, v35, s2 :: v_dual_mov_b32 v5, v1
	s_mov_b32 s14, s12
	s_mov_b32 s15, s12
	;; [unrolled: 1-line block ×3, first 2 shown]
	s_delay_alu instid0(VALU_DEP_2) | instskip(SKIP_3) | instid1(VALU_DEP_4)
	v_add_nc_u64_e32 v[12:13], v[8:9], v[12:13]
	v_mov_b64_e32 v[16:17], s[14:15]
	v_mov_b64_e32 v[14:15], s[12:13]
	v_and_or_b32 v2, 0xffffff1f, v2, 32
	v_readfirstlane_b32 s10, v12
	v_readfirstlane_b32 s11, v13
	s_clause 0x3
	global_store_b128 v0, v[2:5], s[10:11]
	global_store_b128 v0, v[14:17], s[10:11] offset:16
	global_store_b128 v0, v[14:17], s[10:11] offset:32
	;; [unrolled: 1-line block ×3, first 2 shown]
	s_wait_xcnt 0x0
	s_and_saveexec_b32 s2, s3
	s_cbranch_execz .LBB1_435
; %bb.428:
	v_dual_mov_b32 v5, 0 :: v_dual_mov_b32 v15, s9
	s_mov_b32 s7, exec_lo
	s_clause 0x1
	global_load_b64 v[16:17], v5, s[4:5] offset:32 scope:SCOPE_SYS
	global_load_b64 v[2:3], v5, s[4:5] offset:40
	s_wait_loadcnt 0x0
	v_dual_mov_b32 v14, s8 :: v_dual_bitop2_b32 v3, s9, v3 bitop3:0x40
	v_and_b32_e32 v2, s8, v2
	s_delay_alu instid0(VALU_DEP_1) | instskip(NEXT) | instid1(VALU_DEP_1)
	v_mul_u64_e32 v[2:3], 24, v[2:3]
	v_add_nc_u64_e32 v[2:3], v[6:7], v[2:3]
	global_store_b64 v[2:3], v[16:17], off
	global_wb scope:SCOPE_SYS
	s_wait_storecnt 0x0
	s_wait_xcnt 0x0
	global_atomic_cmpswap_b64 v[8:9], v5, v[14:17], s[4:5] offset:32 th:TH_ATOMIC_RETURN scope:SCOPE_SYS
	s_wait_loadcnt 0x0
	v_cmpx_ne_u64_e64 v[8:9], v[16:17]
	s_cbranch_execz .LBB1_431
; %bb.429:
	s_mov_b32 s10, 0
.LBB1_430:                              ; =>This Inner Loop Header: Depth=1
	v_dual_mov_b32 v6, s8 :: v_dual_mov_b32 v7, s9
	s_sleep 1
	global_store_b64 v[2:3], v[8:9], off
	global_wb scope:SCOPE_SYS
	s_wait_storecnt 0x0
	s_wait_xcnt 0x0
	global_atomic_cmpswap_b64 v[6:7], v5, v[6:9], s[4:5] offset:32 th:TH_ATOMIC_RETURN scope:SCOPE_SYS
	s_wait_loadcnt 0x0
	v_cmp_eq_u64_e32 vcc_lo, v[6:7], v[8:9]
	v_mov_b64_e32 v[8:9], v[6:7]
	s_or_b32 s10, vcc_lo, s10
	s_delay_alu instid0(SALU_CYCLE_1)
	s_and_not1_b32 exec_lo, exec_lo, s10
	s_cbranch_execnz .LBB1_430
.LBB1_431:
	s_or_b32 exec_lo, exec_lo, s7
	v_mov_b32_e32 v7, 0
	s_mov_b32 s10, exec_lo
	s_mov_b32 s7, exec_lo
	v_mbcnt_lo_u32_b32 v5, s10, 0
	global_load_b64 v[2:3], v7, s[4:5] offset:16
	s_wait_xcnt 0x0
	v_cmpx_eq_u32_e32 0, v5
	s_cbranch_execz .LBB1_433
; %bb.432:
	s_bcnt1_i32_b32 s10, s10
	s_delay_alu instid0(SALU_CYCLE_1)
	v_mov_b32_e32 v6, s10
	global_wb scope:SCOPE_SYS
	s_wait_loadcnt 0x0
	s_wait_storecnt 0x0
	global_atomic_add_u64 v[2:3], v[6:7], off offset:8 scope:SCOPE_SYS
.LBB1_433:
	s_wait_xcnt 0x0
	s_or_b32 exec_lo, exec_lo, s7
	s_wait_loadcnt 0x0
	global_load_b64 v[6:7], v[2:3], off offset:16
	s_wait_loadcnt 0x0
	v_cmp_eq_u64_e32 vcc_lo, 0, v[6:7]
	s_cbranch_vccnz .LBB1_435
; %bb.434:
	global_load_b32 v2, v[2:3], off offset:24
	s_wait_xcnt 0x0
	v_mov_b32_e32 v3, 0
	s_wait_loadcnt 0x0
	v_readfirstlane_b32 s7, v2
	global_wb scope:SCOPE_SYS
	s_wait_storecnt 0x0
	global_store_b64 v[6:7], v[2:3], off scope:SCOPE_SYS
	s_and_b32 m0, s7, 0xffffff
	s_sendmsg sendmsg(MSG_INTERRUPT)
.LBB1_435:
	s_wait_xcnt 0x0
	s_or_b32 exec_lo, exec_lo, s2
	v_add_nc_u64_e32 v[2:3], v[12:13], v[0:1]
	s_branch .LBB1_439
.LBB1_436:                              ;   in Loop: Header=BB1_439 Depth=1
	s_wait_xcnt 0x0
	s_or_b32 exec_lo, exec_lo, s2
	s_delay_alu instid0(VALU_DEP_1)
	v_readfirstlane_b32 s2, v1
	s_cmp_eq_u32 s2, 0
	s_cbranch_scc1 .LBB1_438
; %bb.437:                              ;   in Loop: Header=BB1_439 Depth=1
	s_sleep 1
	s_cbranch_execnz .LBB1_439
	s_branch .LBB1_441
.LBB1_438:
	s_branch .LBB1_441
.LBB1_439:                              ; =>This Inner Loop Header: Depth=1
	v_mov_b32_e32 v1, 1
	s_and_saveexec_b32 s2, s3
	s_cbranch_execz .LBB1_436
; %bb.440:                              ;   in Loop: Header=BB1_439 Depth=1
	global_load_b32 v1, v[10:11], off offset:20 scope:SCOPE_SYS
	s_wait_loadcnt 0x0
	global_inv scope:SCOPE_SYS
	v_and_b32_e32 v1, 1, v1
	s_branch .LBB1_436
.LBB1_441:
	global_load_b64 v[6:7], v[2:3], off
	s_wait_xcnt 0x0
	s_and_saveexec_b32 s7, s3
	s_cbranch_execz .LBB1_445
; %bb.442:
	v_mov_b32_e32 v1, 0
	s_clause 0x2
	global_load_b64 v[2:3], v1, s[4:5] offset:40
	global_load_b64 v[12:13], v1, s[4:5] offset:24 scope:SCOPE_SYS
	global_load_b64 v[8:9], v1, s[4:5]
	s_wait_loadcnt 0x2
	v_readfirstlane_b32 s10, v2
	v_readfirstlane_b32 s11, v3
	s_add_nc_u64 s[2:3], s[10:11], 1
	s_delay_alu instid0(SALU_CYCLE_1) | instskip(NEXT) | instid1(SALU_CYCLE_1)
	s_add_nc_u64 s[8:9], s[2:3], s[8:9]
	s_cmp_eq_u64 s[8:9], 0
	s_cselect_b32 s3, s3, s9
	s_cselect_b32 s2, s2, s8
	v_mov_b32_e32 v11, s3
	s_and_b64 s[8:9], s[2:3], s[10:11]
	v_mov_b32_e32 v10, s2
	s_mul_u64 s[8:9], s[8:9], 24
	s_wait_loadcnt 0x0
	v_add_nc_u64_e32 v[2:3], s[8:9], v[8:9]
	global_store_b64 v[2:3], v[12:13], off
	global_wb scope:SCOPE_SYS
	s_wait_storecnt 0x0
	s_wait_xcnt 0x0
	global_atomic_cmpswap_b64 v[10:11], v1, v[10:13], s[4:5] offset:24 th:TH_ATOMIC_RETURN scope:SCOPE_SYS
	s_wait_loadcnt 0x0
	v_cmp_ne_u64_e32 vcc_lo, v[10:11], v[12:13]
	s_and_b32 exec_lo, exec_lo, vcc_lo
	s_cbranch_execz .LBB1_445
; %bb.443:
	s_mov_b32 s8, 0
.LBB1_444:                              ; =>This Inner Loop Header: Depth=1
	v_dual_mov_b32 v8, s2 :: v_dual_mov_b32 v9, s3
	s_sleep 1
	global_store_b64 v[2:3], v[10:11], off
	global_wb scope:SCOPE_SYS
	s_wait_storecnt 0x0
	s_wait_xcnt 0x0
	global_atomic_cmpswap_b64 v[8:9], v1, v[8:11], s[4:5] offset:24 th:TH_ATOMIC_RETURN scope:SCOPE_SYS
	s_wait_loadcnt 0x0
	v_cmp_eq_u64_e32 vcc_lo, v[8:9], v[10:11]
	v_mov_b64_e32 v[10:11], v[8:9]
	s_or_b32 s8, vcc_lo, s8
	s_delay_alu instid0(SALU_CYCLE_1)
	s_and_not1_b32 exec_lo, exec_lo, s8
	s_cbranch_execnz .LBB1_444
.LBB1_445:
	s_or_b32 exec_lo, exec_lo, s7
	v_readfirstlane_b32 s2, v34
	v_mov_b64_e32 v[2:3], 0
	s_delay_alu instid0(VALU_DEP_2)
	v_cmp_eq_u32_e64 s2, s2, v34
	s_and_saveexec_b32 s3, s2
	s_cbranch_execz .LBB1_451
; %bb.446:
	v_mov_b32_e32 v1, 0
	s_mov_b32 s7, exec_lo
	global_load_b64 v[10:11], v1, s[4:5] offset:24 scope:SCOPE_SYS
	s_wait_loadcnt 0x0
	global_inv scope:SCOPE_SYS
	s_clause 0x1
	global_load_b64 v[2:3], v1, s[4:5] offset:40
	global_load_b64 v[8:9], v1, s[4:5]
	s_wait_loadcnt 0x1
	v_and_b32_e32 v2, v2, v10
	v_and_b32_e32 v3, v3, v11
	s_delay_alu instid0(VALU_DEP_1) | instskip(SKIP_1) | instid1(VALU_DEP_1)
	v_mul_u64_e32 v[2:3], 24, v[2:3]
	s_wait_loadcnt 0x0
	v_add_nc_u64_e32 v[2:3], v[8:9], v[2:3]
	global_load_b64 v[8:9], v[2:3], off scope:SCOPE_SYS
	s_wait_xcnt 0x0
	s_wait_loadcnt 0x0
	global_atomic_cmpswap_b64 v[2:3], v1, v[8:11], s[4:5] offset:24 th:TH_ATOMIC_RETURN scope:SCOPE_SYS
	s_wait_loadcnt 0x0
	global_inv scope:SCOPE_SYS
	s_wait_xcnt 0x0
	v_cmpx_ne_u64_e64 v[2:3], v[10:11]
	s_cbranch_execz .LBB1_450
; %bb.447:
	s_mov_b32 s8, 0
.LBB1_448:                              ; =>This Inner Loop Header: Depth=1
	s_sleep 1
	s_clause 0x1
	global_load_b64 v[8:9], v1, s[4:5] offset:40
	global_load_b64 v[12:13], v1, s[4:5]
	v_mov_b64_e32 v[10:11], v[2:3]
	s_wait_loadcnt 0x1
	s_delay_alu instid0(VALU_DEP_1) | instskip(NEXT) | instid1(VALU_DEP_2)
	v_and_b32_e32 v2, v8, v10
	v_and_b32_e32 v5, v9, v11
	s_wait_loadcnt 0x0
	s_delay_alu instid0(VALU_DEP_2) | instskip(NEXT) | instid1(VALU_DEP_1)
	v_mad_nc_u64_u32 v[2:3], v2, 24, v[12:13]
	v_mad_u32 v3, v5, 24, v3
	global_load_b64 v[8:9], v[2:3], off scope:SCOPE_SYS
	s_wait_xcnt 0x0
	s_wait_loadcnt 0x0
	global_atomic_cmpswap_b64 v[2:3], v1, v[8:11], s[4:5] offset:24 th:TH_ATOMIC_RETURN scope:SCOPE_SYS
	s_wait_loadcnt 0x0
	global_inv scope:SCOPE_SYS
	v_cmp_eq_u64_e32 vcc_lo, v[2:3], v[10:11]
	s_or_b32 s8, vcc_lo, s8
	s_wait_xcnt 0x0
	s_and_not1_b32 exec_lo, exec_lo, s8
	s_cbranch_execnz .LBB1_448
; %bb.449:
	s_or_b32 exec_lo, exec_lo, s8
.LBB1_450:
	s_delay_alu instid0(SALU_CYCLE_1)
	s_or_b32 exec_lo, exec_lo, s7
.LBB1_451:
	s_delay_alu instid0(SALU_CYCLE_1)
	s_or_b32 exec_lo, exec_lo, s3
	v_readfirstlane_b32 s8, v2
	v_mov_b32_e32 v9, 0
	v_readfirstlane_b32 s9, v3
	s_mov_b32 s3, exec_lo
	s_clause 0x1
	global_load_b64 v[14:15], v9, s[4:5] offset:40
	global_load_b128 v[10:13], v9, s[4:5]
	s_wait_loadcnt 0x1
	v_and_b32_e32 v2, s8, v14
	v_and_b32_e32 v3, s9, v15
	s_delay_alu instid0(VALU_DEP_1) | instskip(SKIP_1) | instid1(VALU_DEP_1)
	v_mul_u64_e32 v[14:15], 24, v[2:3]
	s_wait_loadcnt 0x0
	v_add_nc_u64_e32 v[14:15], v[10:11], v[14:15]
	s_wait_xcnt 0x0
	s_and_saveexec_b32 s7, s2
	s_cbranch_execz .LBB1_453
; %bb.452:
	v_mov_b32_e32 v8, s3
	v_mov_b64_e32 v[18:19], 0x100000002
	s_delay_alu instid0(VALU_DEP_2)
	v_mov_b64_e32 v[16:17], v[8:9]
	global_store_b128 v[14:15], v[16:19], off offset:8
.LBB1_453:
	s_wait_xcnt 0x0
	s_or_b32 exec_lo, exec_lo, s7
	v_lshlrev_b64_e32 v[2:3], 12, v[2:3]
	s_add_co_i32 s3, s6, -1
	s_mov_b32 s12, 0
	s_mul_i32 s3, s3, s6
	s_mov_b32 s14, s12
	s_mov_b32 s15, s12
	;; [unrolled: 1-line block ×3, first 2 shown]
	v_add_nc_u64_e32 v[2:3], v[12:13], v[2:3]
	s_lshr_b32 s3, s3, 1
	v_mov_b64_e32 v[18:19], s[14:15]
	v_mov_b64_e32 v[16:17], s[12:13]
	v_and_or_b32 v6, 0xffffff1d, v6, 34
	v_mov_b32_e32 v8, s3
	v_readfirstlane_b32 s10, v2
	v_readfirstlane_b32 s11, v3
	s_clause 0x3
	global_store_b128 v0, v[6:9], s[10:11]
	global_store_b128 v0, v[16:19], s[10:11] offset:16
	global_store_b128 v0, v[16:19], s[10:11] offset:32
	;; [unrolled: 1-line block ×3, first 2 shown]
	s_wait_xcnt 0x0
	s_and_saveexec_b32 s3, s2
	s_cbranch_execz .LBB1_461
; %bb.454:
	v_mov_b32_e32 v5, 0
	s_mov_b32 s7, exec_lo
	s_clause 0x1
	global_load_b64 v[12:13], v5, s[4:5] offset:32 scope:SCOPE_SYS
	global_load_b64 v[0:1], v5, s[4:5] offset:40
	s_wait_loadcnt 0x0
	v_and_b32_e32 v0, s8, v0
	v_and_b32_e32 v1, s9, v1
	s_delay_alu instid0(VALU_DEP_1) | instskip(NEXT) | instid1(VALU_DEP_1)
	v_mul_u64_e32 v[0:1], 24, v[0:1]
	v_add_nc_u64_e32 v[6:7], v[10:11], v[0:1]
	v_dual_mov_b32 v10, s8 :: v_dual_mov_b32 v11, s9
	global_store_b64 v[6:7], v[12:13], off
	global_wb scope:SCOPE_SYS
	s_wait_storecnt 0x0
	s_wait_xcnt 0x0
	global_atomic_cmpswap_b64 v[2:3], v5, v[10:13], s[4:5] offset:32 th:TH_ATOMIC_RETURN scope:SCOPE_SYS
	s_wait_loadcnt 0x0
	v_cmpx_ne_u64_e64 v[2:3], v[12:13]
	s_cbranch_execz .LBB1_457
; %bb.455:
	s_mov_b32 s10, 0
.LBB1_456:                              ; =>This Inner Loop Header: Depth=1
	v_dual_mov_b32 v0, s8 :: v_dual_mov_b32 v1, s9
	s_sleep 1
	global_store_b64 v[6:7], v[2:3], off
	global_wb scope:SCOPE_SYS
	s_wait_storecnt 0x0
	s_wait_xcnt 0x0
	global_atomic_cmpswap_b64 v[0:1], v5, v[0:3], s[4:5] offset:32 th:TH_ATOMIC_RETURN scope:SCOPE_SYS
	s_wait_loadcnt 0x0
	v_cmp_eq_u64_e32 vcc_lo, v[0:1], v[2:3]
	v_mov_b64_e32 v[2:3], v[0:1]
	s_or_b32 s10, vcc_lo, s10
	s_delay_alu instid0(SALU_CYCLE_1)
	s_and_not1_b32 exec_lo, exec_lo, s10
	s_cbranch_execnz .LBB1_456
.LBB1_457:
	s_or_b32 exec_lo, exec_lo, s7
	v_mov_b32_e32 v3, 0
	s_mov_b32 s10, exec_lo
	s_mov_b32 s7, exec_lo
	v_mbcnt_lo_u32_b32 v2, s10, 0
	global_load_b64 v[0:1], v3, s[4:5] offset:16
	s_wait_xcnt 0x0
	v_cmpx_eq_u32_e32 0, v2
	s_cbranch_execz .LBB1_459
; %bb.458:
	s_bcnt1_i32_b32 s10, s10
	s_delay_alu instid0(SALU_CYCLE_1)
	v_mov_b32_e32 v2, s10
	global_wb scope:SCOPE_SYS
	s_wait_loadcnt 0x0
	s_wait_storecnt 0x0
	global_atomic_add_u64 v[0:1], v[2:3], off offset:8 scope:SCOPE_SYS
.LBB1_459:
	s_wait_xcnt 0x0
	s_or_b32 exec_lo, exec_lo, s7
	s_wait_loadcnt 0x0
	global_load_b64 v[2:3], v[0:1], off offset:16
	s_wait_loadcnt 0x0
	v_cmp_eq_u64_e32 vcc_lo, 0, v[2:3]
	s_cbranch_vccnz .LBB1_461
; %bb.460:
	global_load_b32 v0, v[0:1], off offset:24
	s_wait_xcnt 0x0
	v_mov_b32_e32 v1, 0
	s_wait_loadcnt 0x0
	v_readfirstlane_b32 s7, v0
	global_wb scope:SCOPE_SYS
	s_wait_storecnt 0x0
	global_store_b64 v[2:3], v[0:1], off scope:SCOPE_SYS
	s_and_b32 m0, s7, 0xffffff
	s_sendmsg sendmsg(MSG_INTERRUPT)
.LBB1_461:
	s_wait_xcnt 0x0
	s_or_b32 exec_lo, exec_lo, s3
	s_branch .LBB1_465
.LBB1_462:                              ;   in Loop: Header=BB1_465 Depth=1
	s_wait_xcnt 0x0
	s_or_b32 exec_lo, exec_lo, s3
	s_delay_alu instid0(VALU_DEP_1)
	v_readfirstlane_b32 s3, v0
	s_cmp_eq_u32 s3, 0
	s_cbranch_scc1 .LBB1_464
; %bb.463:                              ;   in Loop: Header=BB1_465 Depth=1
	s_sleep 1
	s_cbranch_execnz .LBB1_465
	s_branch .LBB1_467
.LBB1_464:
	s_branch .LBB1_467
.LBB1_465:                              ; =>This Inner Loop Header: Depth=1
	v_mov_b32_e32 v0, 1
	s_and_saveexec_b32 s3, s2
	s_cbranch_execz .LBB1_462
; %bb.466:                              ;   in Loop: Header=BB1_465 Depth=1
	global_load_b32 v0, v[14:15], off offset:20 scope:SCOPE_SYS
	s_wait_loadcnt 0x0
	global_inv scope:SCOPE_SYS
	v_and_b32_e32 v0, 1, v0
	s_branch .LBB1_462
.LBB1_467:
	s_and_saveexec_b32 s7, s2
	s_cbranch_execz .LBB1_471
; %bb.468:
	v_mov_b32_e32 v5, 0
	s_clause 0x2
	global_load_b64 v[0:1], v5, s[4:5] offset:40
	global_load_b64 v[10:11], v5, s[4:5] offset:24 scope:SCOPE_SYS
	global_load_b64 v[2:3], v5, s[4:5]
	s_wait_loadcnt 0x2
	v_readfirstlane_b32 s10, v0
	v_readfirstlane_b32 s11, v1
	s_add_nc_u64 s[2:3], s[10:11], 1
	s_delay_alu instid0(SALU_CYCLE_1) | instskip(NEXT) | instid1(SALU_CYCLE_1)
	s_add_nc_u64 s[8:9], s[2:3], s[8:9]
	s_cmp_eq_u64 s[8:9], 0
	s_cselect_b32 s3, s3, s9
	s_cselect_b32 s2, s2, s8
	v_mov_b32_e32 v9, s3
	s_and_b64 s[8:9], s[2:3], s[10:11]
	v_mov_b32_e32 v8, s2
	s_mul_u64 s[8:9], s[8:9], 24
	s_wait_loadcnt 0x0
	v_add_nc_u64_e32 v[6:7], s[8:9], v[2:3]
	global_store_b64 v[6:7], v[10:11], off
	global_wb scope:SCOPE_SYS
	s_wait_storecnt 0x0
	s_wait_xcnt 0x0
	global_atomic_cmpswap_b64 v[2:3], v5, v[8:11], s[4:5] offset:24 th:TH_ATOMIC_RETURN scope:SCOPE_SYS
	s_wait_loadcnt 0x0
	v_cmp_ne_u64_e32 vcc_lo, v[2:3], v[10:11]
	s_and_b32 exec_lo, exec_lo, vcc_lo
	s_cbranch_execz .LBB1_471
; %bb.469:
	s_mov_b32 s8, 0
.LBB1_470:                              ; =>This Inner Loop Header: Depth=1
	v_dual_mov_b32 v0, s2 :: v_dual_mov_b32 v1, s3
	s_sleep 1
	global_store_b64 v[6:7], v[2:3], off
	global_wb scope:SCOPE_SYS
	s_wait_storecnt 0x0
	s_wait_xcnt 0x0
	global_atomic_cmpswap_b64 v[0:1], v5, v[0:3], s[4:5] offset:24 th:TH_ATOMIC_RETURN scope:SCOPE_SYS
	s_wait_loadcnt 0x0
	v_cmp_eq_u64_e32 vcc_lo, v[0:1], v[2:3]
	v_mov_b64_e32 v[2:3], v[0:1]
	s_or_b32 s8, vcc_lo, s8
	s_delay_alu instid0(SALU_CYCLE_1)
	s_and_not1_b32 exec_lo, exec_lo, s8
	s_cbranch_execnz .LBB1_470
.LBB1_471:
	s_or_b32 exec_lo, exec_lo, s7
	s_cvt_f32_u32 s2, s6
	s_sub_co_i32 s3, 0, s6
	s_load_b64 s[0:1], s[0:1], 0x0
	s_delay_alu instid0(SALU_CYCLE_1) | instskip(SKIP_1) | instid1(TRANS32_DEP_1)
	v_rcp_iflag_f32_e32 v0, s2
	v_nop
	v_readfirstlane_b32 s2, v0
	s_mul_f32 s2, s2, 0x4f7ffffe
	s_delay_alu instid0(SALU_CYCLE_3) | instskip(NEXT) | instid1(SALU_CYCLE_3)
	s_cvt_u32_f32 s2, s2
	s_mul_i32 s3, s3, s2
	s_delay_alu instid0(SALU_CYCLE_1) | instskip(NEXT) | instid1(SALU_CYCLE_1)
	s_mul_hi_u32 s3, s2, s3
	s_add_co_i32 s2, s2, s3
	s_delay_alu instid0(SALU_CYCLE_1) | instskip(NEXT) | instid1(VALU_DEP_1)
	v_mul_hi_u32 v0, v29, s2
	v_mul_lo_u32 v1, v0, s6
	s_delay_alu instid0(VALU_DEP_1) | instskip(NEXT) | instid1(VALU_DEP_1)
	v_dual_add_nc_u32 v2, 1, v0 :: v_dual_sub_nc_u32 v1, v29, v1
	v_subrev_nc_u32_e32 v3, s6, v1
	v_cmp_le_u32_e32 vcc_lo, s6, v1
	s_delay_alu instid0(VALU_DEP_2) | instskip(NEXT) | instid1(VALU_DEP_1)
	v_dual_cndmask_b32 v0, v0, v2 :: v_dual_cndmask_b32 v1, v1, v3
	v_add_nc_u32_e32 v2, 1, v0
	s_delay_alu instid0(VALU_DEP_2) | instskip(NEXT) | instid1(VALU_DEP_2)
	v_cmp_le_u32_e32 vcc_lo, s6, v1
	v_cndmask_b32_e32 v0, v0, v2, vcc_lo
	s_wait_kmcnt 0x0
	global_store_b32 v0, v4, s[0:1] scale_offset
.LBB1_472:
	s_endpgm
	.section	.rodata,"a",@progbits
	.p2align	6, 0x0
	.amdhsa_kernel _Z35kernel_cg_group_partition_shfl_downPiji
		.amdhsa_group_segment_fixed_size 0
		.amdhsa_private_segment_fixed_size 0
		.amdhsa_kernarg_size 272
		.amdhsa_user_sgpr_count 2
		.amdhsa_user_sgpr_dispatch_ptr 0
		.amdhsa_user_sgpr_queue_ptr 0
		.amdhsa_user_sgpr_kernarg_segment_ptr 1
		.amdhsa_user_sgpr_dispatch_id 0
		.amdhsa_user_sgpr_kernarg_preload_length 0
		.amdhsa_user_sgpr_kernarg_preload_offset 0
		.amdhsa_user_sgpr_private_segment_size 0
		.amdhsa_wavefront_size32 1
		.amdhsa_uses_dynamic_stack 0
		.amdhsa_enable_private_segment 0
		.amdhsa_system_sgpr_workgroup_id_x 1
		.amdhsa_system_sgpr_workgroup_id_y 0
		.amdhsa_system_sgpr_workgroup_id_z 0
		.amdhsa_system_sgpr_workgroup_info 0
		.amdhsa_system_vgpr_workitem_id 0
		.amdhsa_next_free_vgpr 37
		.amdhsa_next_free_sgpr 28
		.amdhsa_named_barrier_count 0
		.amdhsa_reserve_vcc 1
		.amdhsa_float_round_mode_32 0
		.amdhsa_float_round_mode_16_64 0
		.amdhsa_float_denorm_mode_32 3
		.amdhsa_float_denorm_mode_16_64 3
		.amdhsa_fp16_overflow 0
		.amdhsa_memory_ordered 1
		.amdhsa_forward_progress 1
		.amdhsa_inst_pref_size 164
		.amdhsa_round_robin_scheduling 0
		.amdhsa_exception_fp_ieee_invalid_op 0
		.amdhsa_exception_fp_denorm_src 0
		.amdhsa_exception_fp_ieee_div_zero 0
		.amdhsa_exception_fp_ieee_overflow 0
		.amdhsa_exception_fp_ieee_underflow 0
		.amdhsa_exception_fp_ieee_inexact 0
		.amdhsa_exception_int_div_zero 0
	.end_amdhsa_kernel
	.text
.Lfunc_end1:
	.size	_Z35kernel_cg_group_partition_shfl_downPiji, .Lfunc_end1-_Z35kernel_cg_group_partition_shfl_downPiji
                                        ; -- End function
	.set _Z35kernel_cg_group_partition_shfl_downPiji.num_vgpr, 37
	.set _Z35kernel_cg_group_partition_shfl_downPiji.num_agpr, 0
	.set _Z35kernel_cg_group_partition_shfl_downPiji.numbered_sgpr, 28
	.set _Z35kernel_cg_group_partition_shfl_downPiji.num_named_barrier, 0
	.set _Z35kernel_cg_group_partition_shfl_downPiji.private_seg_size, 0
	.set _Z35kernel_cg_group_partition_shfl_downPiji.uses_vcc, 1
	.set _Z35kernel_cg_group_partition_shfl_downPiji.uses_flat_scratch, 0
	.set _Z35kernel_cg_group_partition_shfl_downPiji.has_dyn_sized_stack, 0
	.set _Z35kernel_cg_group_partition_shfl_downPiji.has_recursion, 0
	.set _Z35kernel_cg_group_partition_shfl_downPiji.has_indirect_call, 0
	.section	.AMDGPU.csdata,"",@progbits
; Kernel info:
; codeLenInByte = 20948
; TotalNumSgprs: 30
; NumVgprs: 37
; ScratchSize: 0
; MemoryBound: 0
; FloatMode: 240
; IeeeMode: 1
; LDSByteSize: 0 bytes/workgroup (compile time only)
; SGPRBlocks: 0
; VGPRBlocks: 2
; NumSGPRsForWavesPerEU: 30
; NumVGPRsForWavesPerEU: 37
; NamedBarCnt: 0
; Occupancy: 16
; WaveLimiterHint : 1
; COMPUTE_PGM_RSRC2:SCRATCH_EN: 0
; COMPUTE_PGM_RSRC2:USER_SGPR: 2
; COMPUTE_PGM_RSRC2:TRAP_HANDLER: 0
; COMPUTE_PGM_RSRC2:TGID_X_EN: 1
; COMPUTE_PGM_RSRC2:TGID_Y_EN: 0
; COMPUTE_PGM_RSRC2:TGID_Z_EN: 0
; COMPUTE_PGM_RSRC2:TIDIG_COMP_CNT: 0
	.text
	.p2alignl 7, 3214868480
	.fill 96, 4, 3214868480
	.section	.AMDGPU.gpr_maximums,"",@progbits
	.set amdgpu.max_num_vgpr, 0
	.set amdgpu.max_num_agpr, 0
	.set amdgpu.max_num_sgpr, 0
	.text
	.type	.str,@object                    ; @.str
	.section	.rodata.str1.1,"aMS",@progbits,1
.str:
	.asciz	" Creating %d groups, of tile size %d threads:\n\n"
	.size	.str, 48

	.type	.str.1,@object                  ; @.str.1
.str.1:
	.asciz	"   Sum of all ranks 0..%d in this tiledPartition group using shfl_down is %d (expected %d)\n"
	.size	.str.1, 92

	.type	__hip_cuid_41c919b4db535b52,@object ; @__hip_cuid_41c919b4db535b52
	.section	.bss,"aw",@nobits
	.globl	__hip_cuid_41c919b4db535b52
__hip_cuid_41c919b4db535b52:
	.byte	0                               ; 0x0
	.size	__hip_cuid_41c919b4db535b52, 1

	.ident	"AMD clang version 22.0.0git (https://github.com/RadeonOpenCompute/llvm-project roc-7.2.4 26084 f58b06dce1f9c15707c5f808fd002e18c2accf7e)"
	.section	".note.GNU-stack","",@progbits
	.addrsig
	.addrsig_sym __hip_cuid_41c919b4db535b52
	.amdgpu_metadata
---
amdhsa.kernels:
  - .args:
      - .address_space:  global
        .offset:         0
        .size:           8
        .value_kind:     global_buffer
      - .address_space:  global
        .offset:         8
        .size:           8
        .value_kind:     global_buffer
      - .offset:         16
        .size:           4
        .value_kind:     by_value
      - .offset:         20
        .size:           4
        .value_kind:     by_value
      - .offset:         24
        .size:           4
        .value_kind:     hidden_block_count_x
      - .offset:         28
        .size:           4
        .value_kind:     hidden_block_count_y
      - .offset:         32
        .size:           4
        .value_kind:     hidden_block_count_z
      - .offset:         36
        .size:           2
        .value_kind:     hidden_group_size_x
      - .offset:         38
        .size:           2
        .value_kind:     hidden_group_size_y
      - .offset:         40
        .size:           2
        .value_kind:     hidden_group_size_z
      - .offset:         42
        .size:           2
        .value_kind:     hidden_remainder_x
      - .offset:         44
        .size:           2
        .value_kind:     hidden_remainder_y
      - .offset:         46
        .size:           2
        .value_kind:     hidden_remainder_z
      - .offset:         64
        .size:           8
        .value_kind:     hidden_global_offset_x
      - .offset:         72
        .size:           8
        .value_kind:     hidden_global_offset_y
      - .offset:         80
        .size:           8
        .value_kind:     hidden_global_offset_z
      - .offset:         88
        .size:           2
        .value_kind:     hidden_grid_dims
    .group_segment_fixed_size: 0
    .kernarg_segment_align: 8
    .kernarg_segment_size: 280
    .language:       OpenCL C
    .language_version:
      - 2
      - 0
    .max_flat_workgroup_size: 1024
    .name:           _Z16kernel_shfl_downPiS_ii
    .private_segment_fixed_size: 0
    .sgpr_count:     10
    .sgpr_spill_count: 0
    .symbol:         _Z16kernel_shfl_downPiS_ii.kd
    .uniform_work_group_size: 1
    .uses_dynamic_stack: false
    .vgpr_count:     10
    .vgpr_spill_count: 0
    .wavefront_size: 32
  - .args:
      - .address_space:  global
        .offset:         0
        .size:           8
        .value_kind:     global_buffer
      - .offset:         8
        .size:           4
        .value_kind:     by_value
      - .offset:         12
        .size:           4
        .value_kind:     by_value
      - .offset:         16
        .size:           4
        .value_kind:     hidden_block_count_x
      - .offset:         20
        .size:           4
        .value_kind:     hidden_block_count_y
      - .offset:         24
        .size:           4
        .value_kind:     hidden_block_count_z
      - .offset:         28
        .size:           2
        .value_kind:     hidden_group_size_x
      - .offset:         30
        .size:           2
        .value_kind:     hidden_group_size_y
      - .offset:         32
        .size:           2
        .value_kind:     hidden_group_size_z
      - .offset:         34
        .size:           2
        .value_kind:     hidden_remainder_x
      - .offset:         36
        .size:           2
        .value_kind:     hidden_remainder_y
      - .offset:         38
        .size:           2
        .value_kind:     hidden_remainder_z
      - .offset:         56
        .size:           8
        .value_kind:     hidden_global_offset_x
      - .offset:         64
        .size:           8
        .value_kind:     hidden_global_offset_y
      - .offset:         72
        .size:           8
        .value_kind:     hidden_global_offset_z
      - .offset:         80
        .size:           2
        .value_kind:     hidden_grid_dims
      - .offset:         96
        .size:           8
        .value_kind:     hidden_hostcall_buffer
    .group_segment_fixed_size: 0
    .kernarg_segment_align: 8
    .kernarg_segment_size: 272
    .language:       OpenCL C
    .language_version:
      - 2
      - 0
    .max_flat_workgroup_size: 1024
    .name:           _Z35kernel_cg_group_partition_shfl_downPiji
    .private_segment_fixed_size: 0
    .sgpr_count:     30
    .sgpr_spill_count: 0
    .symbol:         _Z35kernel_cg_group_partition_shfl_downPiji.kd
    .uniform_work_group_size: 1
    .uses_dynamic_stack: false
    .vgpr_count:     37
    .vgpr_spill_count: 0
    .wavefront_size: 32
amdhsa.target:   amdgcn-amd-amdhsa--gfx1250
amdhsa.version:
  - 1
  - 2
...

	.end_amdgpu_metadata
